;; amdgpu-corpus repo=ROCm/rocFFT kind=compiled arch=gfx1030 opt=O3
	.text
	.amdgcn_target "amdgcn-amd-amdhsa--gfx1030"
	.amdhsa_code_object_version 6
	.protected	fft_rtc_fwd_len3240_factors_3_3_10_6_6_wgs_108_tpt_108_halfLds_half_op_CI_CI_sbrr_dirReg ; -- Begin function fft_rtc_fwd_len3240_factors_3_3_10_6_6_wgs_108_tpt_108_halfLds_half_op_CI_CI_sbrr_dirReg
	.globl	fft_rtc_fwd_len3240_factors_3_3_10_6_6_wgs_108_tpt_108_halfLds_half_op_CI_CI_sbrr_dirReg
	.p2align	8
	.type	fft_rtc_fwd_len3240_factors_3_3_10_6_6_wgs_108_tpt_108_halfLds_half_op_CI_CI_sbrr_dirReg,@function
fft_rtc_fwd_len3240_factors_3_3_10_6_6_wgs_108_tpt_108_halfLds_half_op_CI_CI_sbrr_dirReg: ; @fft_rtc_fwd_len3240_factors_3_3_10_6_6_wgs_108_tpt_108_halfLds_half_op_CI_CI_sbrr_dirReg
; %bb.0:
	s_clause 0x2
	s_load_dwordx4 s[16:19], s[4:5], 0x18
	s_load_dwordx4 s[12:15], s[4:5], 0x0
	;; [unrolled: 1-line block ×3, first 2 shown]
	v_mul_u32_u24_e32 v1, 0x25f, v0
	v_mov_b32_e32 v7, 0
	v_mov_b32_e32 v5, 0
	;; [unrolled: 1-line block ×3, first 2 shown]
	s_waitcnt lgkmcnt(0)
	s_load_dwordx2 s[20:21], s[16:17], 0x0
	s_load_dwordx2 s[2:3], s[18:19], 0x0
	v_cmp_lt_u64_e64 s0, s[14:15], 2
	v_add_nc_u32_sdwa v9, s6, v1 dst_sel:DWORD dst_unused:UNUSED_PAD src0_sel:DWORD src1_sel:WORD_1
	v_mov_b32_e32 v10, v7
	s_and_b32 vcc_lo, exec_lo, s0
	s_cbranch_vccnz .LBB0_8
; %bb.1:
	s_load_dwordx2 s[0:1], s[4:5], 0x10
	v_mov_b32_e32 v5, 0
	v_mov_b32_e32 v6, 0
	s_add_u32 s6, s18, 8
	s_addc_u32 s7, s19, 0
	v_mov_b32_e32 v1, v5
	s_add_u32 s22, s16, 8
	v_mov_b32_e32 v2, v6
	s_addc_u32 s23, s17, 0
	s_mov_b64 s[26:27], 1
	s_waitcnt lgkmcnt(0)
	s_add_u32 s24, s0, 8
	s_addc_u32 s25, s1, 0
.LBB0_2:                                ; =>This Inner Loop Header: Depth=1
	s_load_dwordx2 s[28:29], s[24:25], 0x0
                                        ; implicit-def: $vgpr3_vgpr4
	s_mov_b32 s0, exec_lo
	s_waitcnt lgkmcnt(0)
	v_or_b32_e32 v8, s29, v10
	v_cmpx_ne_u64_e32 0, v[7:8]
	s_xor_b32 s1, exec_lo, s0
	s_cbranch_execz .LBB0_4
; %bb.3:                                ;   in Loop: Header=BB0_2 Depth=1
	v_cvt_f32_u32_e32 v3, s28
	v_cvt_f32_u32_e32 v4, s29
	s_sub_u32 s0, 0, s28
	s_subb_u32 s30, 0, s29
	v_fmac_f32_e32 v3, 0x4f800000, v4
	v_rcp_f32_e32 v3, v3
	v_mul_f32_e32 v3, 0x5f7ffffc, v3
	v_mul_f32_e32 v4, 0x2f800000, v3
	v_trunc_f32_e32 v4, v4
	v_fmac_f32_e32 v3, 0xcf800000, v4
	v_cvt_u32_f32_e32 v4, v4
	v_cvt_u32_f32_e32 v3, v3
	v_mul_lo_u32 v8, s0, v4
	v_mul_hi_u32 v11, s0, v3
	v_mul_lo_u32 v12, s30, v3
	v_add_nc_u32_e32 v8, v11, v8
	v_mul_lo_u32 v11, s0, v3
	v_add_nc_u32_e32 v8, v8, v12
	v_mul_hi_u32 v12, v3, v11
	v_mul_lo_u32 v13, v3, v8
	v_mul_hi_u32 v14, v3, v8
	v_mul_hi_u32 v15, v4, v11
	v_mul_lo_u32 v11, v4, v11
	v_mul_hi_u32 v16, v4, v8
	v_mul_lo_u32 v8, v4, v8
	v_add_co_u32 v12, vcc_lo, v12, v13
	v_add_co_ci_u32_e32 v13, vcc_lo, 0, v14, vcc_lo
	v_add_co_u32 v11, vcc_lo, v12, v11
	v_add_co_ci_u32_e32 v11, vcc_lo, v13, v15, vcc_lo
	v_add_co_ci_u32_e32 v12, vcc_lo, 0, v16, vcc_lo
	v_add_co_u32 v8, vcc_lo, v11, v8
	v_add_co_ci_u32_e32 v11, vcc_lo, 0, v12, vcc_lo
	v_add_co_u32 v3, vcc_lo, v3, v8
	v_add_co_ci_u32_e32 v4, vcc_lo, v4, v11, vcc_lo
	v_mul_hi_u32 v8, s0, v3
	v_mul_lo_u32 v12, s30, v3
	v_mul_lo_u32 v11, s0, v4
	v_add_nc_u32_e32 v8, v8, v11
	v_mul_lo_u32 v11, s0, v3
	v_add_nc_u32_e32 v8, v8, v12
	v_mul_hi_u32 v12, v3, v11
	v_mul_lo_u32 v13, v3, v8
	v_mul_hi_u32 v14, v3, v8
	v_mul_hi_u32 v15, v4, v11
	v_mul_lo_u32 v11, v4, v11
	v_mul_hi_u32 v16, v4, v8
	v_mul_lo_u32 v8, v4, v8
	v_add_co_u32 v12, vcc_lo, v12, v13
	v_add_co_ci_u32_e32 v13, vcc_lo, 0, v14, vcc_lo
	v_add_co_u32 v11, vcc_lo, v12, v11
	v_add_co_ci_u32_e32 v11, vcc_lo, v13, v15, vcc_lo
	v_add_co_ci_u32_e32 v12, vcc_lo, 0, v16, vcc_lo
	v_add_co_u32 v8, vcc_lo, v11, v8
	v_add_co_ci_u32_e32 v11, vcc_lo, 0, v12, vcc_lo
	v_add_co_u32 v8, vcc_lo, v3, v8
	v_add_co_ci_u32_e32 v13, vcc_lo, v4, v11, vcc_lo
	v_mul_hi_u32 v15, v9, v8
	v_mad_u64_u32 v[11:12], null, v10, v8, 0
	v_mad_u64_u32 v[3:4], null, v9, v13, 0
	v_mad_u64_u32 v[13:14], null, v10, v13, 0
	v_add_co_u32 v3, vcc_lo, v15, v3
	v_add_co_ci_u32_e32 v4, vcc_lo, 0, v4, vcc_lo
	v_add_co_u32 v3, vcc_lo, v3, v11
	v_add_co_ci_u32_e32 v3, vcc_lo, v4, v12, vcc_lo
	v_add_co_ci_u32_e32 v4, vcc_lo, 0, v14, vcc_lo
	v_add_co_u32 v8, vcc_lo, v3, v13
	v_add_co_ci_u32_e32 v11, vcc_lo, 0, v4, vcc_lo
	v_mul_lo_u32 v12, s29, v8
	v_mad_u64_u32 v[3:4], null, s28, v8, 0
	v_mul_lo_u32 v13, s28, v11
	v_sub_co_u32 v3, vcc_lo, v9, v3
	v_add3_u32 v4, v4, v13, v12
	v_sub_nc_u32_e32 v12, v10, v4
	v_subrev_co_ci_u32_e64 v12, s0, s29, v12, vcc_lo
	v_add_co_u32 v13, s0, v8, 2
	v_add_co_ci_u32_e64 v14, s0, 0, v11, s0
	v_sub_co_u32 v15, s0, v3, s28
	v_sub_co_ci_u32_e32 v4, vcc_lo, v10, v4, vcc_lo
	v_subrev_co_ci_u32_e64 v12, s0, 0, v12, s0
	v_cmp_le_u32_e32 vcc_lo, s28, v15
	v_cmp_eq_u32_e64 s0, s29, v4
	v_cndmask_b32_e64 v15, 0, -1, vcc_lo
	v_cmp_le_u32_e32 vcc_lo, s29, v12
	v_cndmask_b32_e64 v16, 0, -1, vcc_lo
	v_cmp_le_u32_e32 vcc_lo, s28, v3
	;; [unrolled: 2-line block ×3, first 2 shown]
	v_cndmask_b32_e64 v17, 0, -1, vcc_lo
	v_cmp_eq_u32_e32 vcc_lo, s29, v12
	v_cndmask_b32_e64 v3, v17, v3, s0
	v_cndmask_b32_e32 v12, v16, v15, vcc_lo
	v_add_co_u32 v15, vcc_lo, v8, 1
	v_add_co_ci_u32_e32 v16, vcc_lo, 0, v11, vcc_lo
	v_cmp_ne_u32_e32 vcc_lo, 0, v12
	v_cndmask_b32_e32 v4, v16, v14, vcc_lo
	v_cndmask_b32_e32 v12, v15, v13, vcc_lo
	v_cmp_ne_u32_e32 vcc_lo, 0, v3
	v_cndmask_b32_e32 v4, v11, v4, vcc_lo
	v_cndmask_b32_e32 v3, v8, v12, vcc_lo
.LBB0_4:                                ;   in Loop: Header=BB0_2 Depth=1
	s_andn2_saveexec_b32 s0, s1
	s_cbranch_execz .LBB0_6
; %bb.5:                                ;   in Loop: Header=BB0_2 Depth=1
	v_cvt_f32_u32_e32 v3, s28
	s_sub_i32 s1, 0, s28
	v_rcp_iflag_f32_e32 v3, v3
	v_mul_f32_e32 v3, 0x4f7ffffe, v3
	v_cvt_u32_f32_e32 v3, v3
	v_mul_lo_u32 v4, s1, v3
	v_mul_hi_u32 v4, v3, v4
	v_add_nc_u32_e32 v3, v3, v4
	v_mul_hi_u32 v3, v9, v3
	v_mul_lo_u32 v4, v3, s28
	v_add_nc_u32_e32 v8, 1, v3
	v_sub_nc_u32_e32 v4, v9, v4
	v_subrev_nc_u32_e32 v11, s28, v4
	v_cmp_le_u32_e32 vcc_lo, s28, v4
	v_cndmask_b32_e32 v4, v4, v11, vcc_lo
	v_cndmask_b32_e32 v3, v3, v8, vcc_lo
	v_cmp_le_u32_e32 vcc_lo, s28, v4
	v_add_nc_u32_e32 v8, 1, v3
	v_mov_b32_e32 v4, v7
	v_cndmask_b32_e32 v3, v3, v8, vcc_lo
.LBB0_6:                                ;   in Loop: Header=BB0_2 Depth=1
	s_or_b32 exec_lo, exec_lo, s0
	v_mul_lo_u32 v8, v4, s28
	v_mul_lo_u32 v13, v3, s29
	s_load_dwordx2 s[0:1], s[22:23], 0x0
	v_mad_u64_u32 v[11:12], null, v3, s28, 0
	s_load_dwordx2 s[28:29], s[6:7], 0x0
	s_add_u32 s26, s26, 1
	s_addc_u32 s27, s27, 0
	s_add_u32 s6, s6, 8
	s_addc_u32 s7, s7, 0
	s_add_u32 s22, s22, 8
	v_add3_u32 v8, v12, v13, v8
	v_sub_co_u32 v9, vcc_lo, v9, v11
	s_addc_u32 s23, s23, 0
	s_add_u32 s24, s24, 8
	v_sub_co_ci_u32_e32 v8, vcc_lo, v10, v8, vcc_lo
	s_addc_u32 s25, s25, 0
	s_waitcnt lgkmcnt(0)
	v_mul_lo_u32 v10, s0, v8
	v_mul_lo_u32 v11, s1, v9
	v_mad_u64_u32 v[5:6], null, s0, v9, v[5:6]
	v_mul_lo_u32 v8, s28, v8
	v_mul_lo_u32 v12, s29, v9
	v_mad_u64_u32 v[1:2], null, s28, v9, v[1:2]
	v_cmp_ge_u64_e64 s0, s[26:27], s[14:15]
	v_add3_u32 v6, v11, v6, v10
	v_add3_u32 v2, v12, v2, v8
	s_and_b32 vcc_lo, exec_lo, s0
	s_cbranch_vccnz .LBB0_9
; %bb.7:                                ;   in Loop: Header=BB0_2 Depth=1
	v_mov_b32_e32 v10, v4
	v_mov_b32_e32 v9, v3
	s_branch .LBB0_2
.LBB0_8:
	v_mov_b32_e32 v1, v5
	v_mov_b32_e32 v3, v9
	;; [unrolled: 1-line block ×4, first 2 shown]
.LBB0_9:
	s_load_dwordx2 s[0:1], s[4:5], 0x28
	v_mul_hi_u32 v32, 0x25ed098, v0
	s_lshl_b64 s[6:7], s[14:15], 3
                                        ; implicit-def: $vgpr7
                                        ; implicit-def: $vgpr8
                                        ; implicit-def: $vgpr9
                                        ; implicit-def: $vgpr10
                                        ; implicit-def: $vgpr11
                                        ; implicit-def: $vgpr23
                                        ; implicit-def: $vgpr25
                                        ; implicit-def: $vgpr28
                                        ; implicit-def: $vgpr29
                                        ; implicit-def: $vgpr30
	s_add_u32 s4, s18, s6
	s_addc_u32 s5, s19, s7
	s_waitcnt lgkmcnt(0)
	v_cmp_gt_u64_e32 vcc_lo, s[0:1], v[3:4]
	v_cmp_le_u64_e64 s0, s[0:1], v[3:4]
	s_and_saveexec_b32 s1, s0
	s_xor_b32 s0, exec_lo, s1
; %bb.10:
	v_mul_u32_u24_e32 v5, 0x6c, v32
                                        ; implicit-def: $vgpr32
	v_sub_nc_u32_e32 v7, v0, v5
                                        ; implicit-def: $vgpr0
                                        ; implicit-def: $vgpr5_vgpr6
	v_add_nc_u32_e32 v8, 0x6c, v7
	v_add_nc_u32_e32 v9, 0xd8, v7
	;; [unrolled: 1-line block ×9, first 2 shown]
; %bb.11:
	s_or_saveexec_b32 s1, s0
                                        ; implicit-def: $vgpr76
                                        ; implicit-def: $vgpr73
                                        ; implicit-def: $vgpr78
                                        ; implicit-def: $vgpr72
                                        ; implicit-def: $vgpr59
                                        ; implicit-def: $vgpr22
                                        ; implicit-def: $vgpr77
                                        ; implicit-def: $vgpr74
                                        ; implicit-def: $vgpr79
                                        ; implicit-def: $vgpr75
                                        ; implicit-def: $vgpr60
                                        ; implicit-def: $vgpr26
                                        ; implicit-def: $vgpr81
                                        ; implicit-def: $vgpr62
                                        ; implicit-def: $vgpr85
                                        ; implicit-def: $vgpr63
                                        ; implicit-def: $vgpr61
                                        ; implicit-def: $vgpr20
                                        ; implicit-def: $vgpr84
                                        ; implicit-def: $vgpr65
                                        ; implicit-def: $vgpr88
                                        ; implicit-def: $vgpr66
                                        ; implicit-def: $vgpr64
                                        ; implicit-def: $vgpr21
                                        ; implicit-def: $vgpr90
                                        ; implicit-def: $vgpr69
                                        ; implicit-def: $vgpr94
                                        ; implicit-def: $vgpr71
                                        ; implicit-def: $vgpr67
                                        ; implicit-def: $vgpr15
                                        ; implicit-def: $vgpr93
                                        ; implicit-def: $vgpr54
                                        ; implicit-def: $vgpr95
                                        ; implicit-def: $vgpr55
                                        ; implicit-def: $vgpr68
                                        ; implicit-def: $vgpr16
                                        ; implicit-def: $vgpr98
                                        ; implicit-def: $vgpr56
                                        ; implicit-def: $vgpr99
                                        ; implicit-def: $vgpr57
                                        ; implicit-def: $vgpr70
                                        ; implicit-def: $vgpr17
                                        ; implicit-def: $vgpr101
                                        ; implicit-def: $vgpr58
                                        ; implicit-def: $vgpr103
                                        ; implicit-def: $vgpr24
                                        ; implicit-def: $vgpr100
                                        ; implicit-def: $vgpr13
                                        ; implicit-def: $vgpr104
                                        ; implicit-def: $vgpr42
                                        ; implicit-def: $vgpr105
                                        ; implicit-def: $vgpr43
                                        ; implicit-def: $vgpr102
                                        ; implicit-def: $vgpr12
                                        ; implicit-def: $vgpr27
                                        ; implicit-def: $vgpr18
                                        ; implicit-def: $vgpr31
                                        ; implicit-def: $vgpr19
                                        ; implicit-def: $vgpr106
                                        ; implicit-def: $vgpr14
	s_xor_b32 exec_lo, exec_lo, s1
	s_cbranch_execz .LBB0_13
; %bb.12:
	s_add_u32 s6, s16, s6
	s_addc_u32 s7, s17, s7
	v_mul_u32_u24_e32 v7, 0x6c, v32
	s_load_dwordx2 s[6:7], s[6:7], 0x0
	v_lshlrev_b64 v[5:6], 2, v[5:6]
	v_sub_nc_u32_e32 v7, v0, v7
	v_mad_u64_u32 v[9:10], null, s20, v7, 0
	v_add_nc_u32_e32 v20, 0x438, v7
	v_add_nc_u32_e32 v23, 0x870, v7
	;; [unrolled: 1-line block ×5, first 2 shown]
	v_mad_u64_u32 v[11:12], null, s20, v20, 0
	v_mov_b32_e32 v0, v10
	v_mad_u64_u32 v[13:14], null, s20, v23, 0
	s_waitcnt lgkmcnt(0)
	v_mul_lo_u32 v10, s7, v3
	v_mul_lo_u32 v21, s6, v4
	v_mad_u64_u32 v[15:16], null, s6, v3, 0
	v_mad_u64_u32 v[17:18], null, s21, v7, v[0:1]
	v_mov_b32_e32 v0, v12
	v_mov_b32_e32 v12, v14
	v_mad_u64_u32 v[18:19], null, s20, v8, 0
	v_add3_u32 v16, v16, v21, v10
	v_mad_u64_u32 v[20:21], null, s21, v20, v[0:1]
	v_mov_b32_e32 v10, v17
	v_mad_u64_u32 v[21:22], null, s20, v25, 0
	v_lshlrev_b64 v[14:15], 2, v[15:16]
	v_mad_u64_u32 v[16:17], null, s21, v23, v[12:13]
	v_lshlrev_b64 v[9:10], 2, v[9:10]
	v_mov_b32_e32 v17, v19
	v_mov_b32_e32 v12, v20
	v_add_co_u32 v0, s0, s8, v14
	v_add_co_ci_u32_e64 v15, s0, s9, v15, s0
	v_mov_b32_e32 v14, v16
	v_add_co_u32 v0, s0, v0, v5
	v_add_co_ci_u32_e64 v5, s0, v15, v6, s0
	v_lshlrev_b64 v[11:12], 2, v[11:12]
	v_add_co_u32 v15, s0, v0, v9
	v_add_co_ci_u32_e64 v16, s0, v5, v10, s0
	v_mad_u64_u32 v[9:10], null, s21, v8, v[17:18]
	v_add_nc_u32_e32 v10, 0x8dc, v7
	v_mov_b32_e32 v6, v22
	v_lshlrev_b64 v[13:14], 2, v[13:14]
	v_add_co_u32 v11, s0, v0, v11
	v_mad_u64_u32 v[23:24], null, s20, v10, 0
	v_mov_b32_e32 v19, v9
	v_mad_u64_u32 v[25:26], null, s21, v25, v[6:7]
	v_add_co_ci_u32_e64 v12, s0, v5, v12, s0
	v_add_co_u32 v26, s0, v0, v13
	v_add_nc_u32_e32 v9, 0xd8, v7
	v_mov_b32_e32 v6, v24
	v_add_co_ci_u32_e64 v27, s0, v5, v14, s0
	v_lshlrev_b64 v[13:14], 2, v[18:19]
	v_mov_b32_e32 v22, v25
	v_mad_u64_u32 v[17:18], null, s20, v9, 0
	v_mad_u64_u32 v[19:20], null, s21, v10, v[6:7]
	v_add_nc_u32_e32 v10, 0x510, v7
	v_add_co_u32 v28, s0, v0, v13
	v_add_co_ci_u32_e64 v29, s0, v5, v14, s0
	v_lshlrev_b64 v[13:14], 2, v[21:22]
	v_mad_u64_u32 v[20:21], null, s20, v10, 0
	v_mov_b32_e32 v6, v18
	v_mov_b32_e32 v24, v19
	v_mad_u64_u32 v[35:36], null, s20, v37, 0
	v_add_co_u32 v30, s0, v0, v13
	v_mad_u64_u32 v[18:19], null, s21, v9, v[6:7]
	v_mov_b32_e32 v6, v21
	v_add_nc_u32_e32 v19, 0x948, v7
	v_add_co_ci_u32_e64 v31, s0, v5, v14, s0
	v_lshlrev_b64 v[13:14], 2, v[23:24]
	v_mad_u64_u32 v[21:22], null, s21, v10, v[6:7]
	v_mad_u64_u32 v[22:23], null, s20, v19, 0
	v_add_nc_u32_e32 v10, 0x144, v7
	v_add_co_u32 v24, s0, v0, v13
	v_add_co_ci_u32_e64 v25, s0, v5, v14, s0
	v_mad_u64_u32 v[32:33], null, s20, v10, 0
	v_mov_b32_e32 v6, v23
	v_lshlrev_b64 v[13:14], 2, v[17:18]
	v_lshlrev_b64 v[17:18], 2, v[20:21]
	v_add_nc_u32_e32 v38, 0xa20, v7
	v_mad_u64_u32 v[19:20], null, s21, v19, v[6:7]
	v_add_co_u32 v20, s0, v0, v13
	v_mov_b32_e32 v6, v33
	v_add_co_ci_u32_e64 v21, s0, v5, v14, s0
	v_add_co_u32 v33, s0, v0, v17
	v_add_co_ci_u32_e64 v34, s0, v5, v18, s0
	v_mad_u64_u32 v[17:18], null, s21, v10, v[6:7]
	v_mov_b32_e32 v23, v19
	s_clause 0x7
	global_load_dword v14, v[15:16], off
	global_load_dword v19, v[11:12], off
	;; [unrolled: 1-line block ×8, first 2 shown]
	v_add_nc_u32_e32 v29, 0x9b4, v7
	v_mov_b32_e32 v6, v36
	v_add_nc_u32_e32 v11, 0x1b0, v7
	v_lshlrev_b64 v[15:16], 2, v[22:23]
	v_mov_b32_e32 v33, v17
	v_mad_u64_u32 v[20:21], null, s20, v29, 0
	v_mad_u64_u32 v[22:23], null, s21, v37, v[6:7]
	v_lshlrev_b64 v[25:26], 2, v[32:33]
	v_add_co_u32 v15, s0, v0, v15
	v_mad_u64_u32 v[27:28], null, s20, v11, 0
	v_mov_b32_e32 v6, v21
	v_add_nc_u32_e32 v17, 0x5e8, v7
	v_add_co_ci_u32_e64 v16, s0, v5, v16, s0
	v_mov_b32_e32 v36, v22
	v_mad_u64_u32 v[21:22], null, s21, v29, v[6:7]
	v_add_co_u32 v29, s0, v0, v25
	v_add_co_ci_u32_e64 v30, s0, v5, v26, s0
	v_mad_u64_u32 v[25:26], null, s20, v17, 0
	v_mov_b32_e32 v6, v28
	v_lshlrev_b64 v[22:23], 2, v[35:36]
	v_mad_u64_u32 v[34:35], null, s20, v38, 0
	v_lshlrev_b64 v[20:21], 2, v[20:21]
	v_mad_u64_u32 v[31:32], null, s21, v11, v[6:7]
	v_mov_b32_e32 v6, v26
	v_add_co_u32 v32, s0, v0, v22
	v_add_co_ci_u32_e64 v33, s0, v5, v23, s0
	v_mad_u64_u32 v[22:23], null, s21, v17, v[6:7]
	v_add_nc_u32_e32 v23, 0x21c, v7
	v_mov_b32_e32 v6, v35
	v_mov_b32_e32 v28, v31
	v_add_nc_u32_e32 v17, 0x654, v7
	v_add_co_u32 v20, s0, v0, v20
	v_mad_u64_u32 v[36:37], null, s20, v23, 0
	v_mad_u64_u32 v[38:39], null, s21, v38, v[6:7]
	v_mov_b32_e32 v26, v22
	v_lshlrev_b64 v[27:28], 2, v[27:28]
	v_add_co_ci_u32_e64 v21, s0, v5, v21, s0
	v_mov_b32_e32 v6, v37
	v_lshlrev_b64 v[25:26], 2, v[25:26]
	v_mov_b32_e32 v35, v38
	v_add_co_u32 v27, s0, v0, v27
	v_mad_u64_u32 v[37:38], null, s21, v23, v[6:7]
	v_mad_u64_u32 v[38:39], null, s20, v17, 0
	v_add_nc_u32_e32 v22, 0xa8c, v7
	v_add_co_ci_u32_e64 v28, s0, v5, v28, s0
	v_add_co_u32 v40, s0, v0, v25
	v_add_co_ci_u32_e64 v41, s0, v5, v26, s0
	v_lshlrev_b64 v[25:26], 2, v[34:35]
	v_mad_u64_u32 v[34:35], null, s20, v22, 0
	v_mov_b32_e32 v6, v39
	v_lshlrev_b64 v[36:37], 2, v[36:37]
	v_mad_u64_u32 v[44:45], null, s21, v17, v[6:7]
	v_mov_b32_e32 v6, v35
	v_add_co_u32 v45, s0, v0, v25
	v_add_nc_u32_e32 v25, 0x288, v7
	v_add_co_ci_u32_e64 v46, s0, v5, v26, s0
	v_mad_u64_u32 v[47:48], null, s21, v22, v[6:7]
	v_mad_u64_u32 v[48:49], null, s20, v25, 0
	v_add_nc_u32_e32 v22, 0x6c0, v7
	v_add_co_u32 v35, s0, v0, v36
	v_mov_b32_e32 v39, v44
	v_add_co_ci_u32_e64 v36, s0, v5, v37, s0
	v_mov_b32_e32 v6, v49
	s_clause 0x7
	global_load_dword v58, v[15:16], off
	global_load_dword v17, v[29:30], off
	;; [unrolled: 1-line block ×8, first 2 shown]
	v_mad_u64_u32 v[29:30], null, s20, v22, 0
	v_lshlrev_b64 v[20:21], 2, v[38:39]
	v_mad_u64_u32 v[26:27], null, s21, v25, v[6:7]
	v_mov_b32_e32 v35, v47
	v_add_nc_u32_e32 v38, 0xaf8, v7
	v_add_nc_u32_e32 v28, 0x2f4, v7
	v_mov_b32_e32 v6, v30
	v_add_nc_u32_e32 v46, 0xb64, v7
	v_lshlrev_b64 v[31:32], 2, v[34:35]
	v_mov_b32_e32 v49, v26
	v_mad_u64_u32 v[26:27], null, s20, v38, 0
	v_mad_u64_u32 v[33:34], null, s20, v28, 0
	;; [unrolled: 1-line block ×3, first 2 shown]
	v_add_co_u32 v20, s0, v0, v20
	v_mov_b32_e32 v6, v27
	v_lshlrev_b64 v[36:37], 2, v[48:49]
	v_mov_b32_e32 v22, v34
	v_add_co_ci_u32_e64 v21, s0, v5, v21, s0
	v_mov_b32_e32 v30, v35
	v_mad_u64_u32 v[34:35], null, s21, v38, v[6:7]
	v_mad_u64_u32 v[38:39], null, s21, v28, v[22:23]
	;; [unrolled: 1-line block ×3, first 2 shown]
	v_add_co_u32 v31, s0, v0, v31
	v_lshlrev_b64 v[29:30], 2, v[29:30]
	v_add_nc_u32_e32 v41, 0x72c, v7
	v_add_co_ci_u32_e64 v32, s0, v5, v32, s0
	v_add_co_u32 v35, s0, v0, v36
	v_add_co_ci_u32_e64 v36, s0, v5, v37, s0
	v_mov_b32_e32 v22, v40
	v_mov_b32_e32 v27, v34
	;; [unrolled: 1-line block ×3, first 2 shown]
	v_mad_u64_u32 v[37:38], null, s20, v41, 0
	v_add_co_u32 v44, s0, v0, v29
	v_add_nc_u32_e32 v29, 0x360, v7
	v_mad_u64_u32 v[46:47], null, s21, v46, v[22:23]
	v_add_nc_u32_e32 v22, 0x798, v7
	v_mov_b32_e32 v6, v38
	v_mad_u64_u32 v[47:48], null, s20, v29, 0
	v_lshlrev_b64 v[26:27], 2, v[26:27]
	v_lshlrev_b64 v[33:34], 2, v[33:34]
	v_mad_u64_u32 v[40:41], null, s21, v41, v[6:7]
	v_add_nc_u32_e32 v41, 0xbd0, v7
	v_add_co_ci_u32_e64 v45, s0, v5, v30, s0
	v_mov_b32_e32 v6, v48
	v_add_nc_u32_e32 v30, 0x3cc, v7
	v_add_co_u32 v26, s0, v0, v26
	v_mov_b32_e32 v38, v40
	v_mad_u64_u32 v[48:49], null, s21, v29, v[6:7]
	v_mad_u64_u32 v[49:50], null, s20, v22, 0
	v_mov_b32_e32 v40, v46
	v_lshlrev_b64 v[37:38], 2, v[37:38]
	v_add_co_ci_u32_e64 v27, s0, v5, v27, s0
	v_add_co_u32 v33, s0, v0, v33
	v_mov_b32_e32 v6, v50
	v_lshlrev_b64 v[39:40], 2, v[39:40]
	v_mad_u64_u32 v[59:60], null, s20, v30, 0
	v_add_co_ci_u32_e64 v34, s0, v5, v34, s0
	v_mad_u64_u32 v[50:51], null, s21, v22, v[6:7]
	v_mad_u64_u32 v[51:52], null, s20, v41, 0
	v_add_co_u32 v37, s0, v0, v37
	v_add_nc_u32_e32 v22, 0x804, v7
	v_add_co_ci_u32_e64 v38, s0, v5, v38, s0
	v_add_co_u32 v39, s0, v0, v39
	v_mov_b32_e32 v6, v52
	v_add_co_ci_u32_e64 v40, s0, v5, v40, s0
	s_clause 0x7
	global_load_dword v71, v[20:21], off
	global_load_dword v69, v[31:32], off
	;; [unrolled: 1-line block ×8, first 2 shown]
	v_lshlrev_b64 v[26:27], 2, v[47:48]
	v_mad_u64_u32 v[31:32], null, s21, v41, v[6:7]
	v_mov_b32_e32 v6, v60
	v_add_nc_u32_e32 v41, 0xc3c, v7
	v_mad_u64_u32 v[32:33], null, s20, v22, 0
	v_lshlrev_b64 v[37:38], 2, v[49:50]
	v_mad_u64_u32 v[34:35], null, s21, v30, v[6:7]
	v_mad_u64_u32 v[35:36], null, s20, v41, 0
	v_mov_b32_e32 v52, v31
	v_mov_b32_e32 v6, v33
	v_add_co_u32 v26, s0, v0, v26
	v_mov_b32_e32 v60, v34
	v_lshlrev_b64 v[39:40], 2, v[51:52]
	v_mad_u64_u32 v[33:34], null, s21, v22, v[6:7]
	v_mov_b32_e32 v6, v36
	v_add_co_ci_u32_e64 v27, s0, v5, v27, s0
	v_add_co_u32 v37, s0, v0, v37
	v_mad_u64_u32 v[44:45], null, s21, v41, v[6:7]
	v_lshlrev_b64 v[45:46], 2, v[59:60]
	v_add_co_ci_u32_e64 v38, s0, v5, v38, s0
	v_add_co_u32 v39, s0, v0, v39
	v_lshlrev_b64 v[31:32], 2, v[32:33]
	v_mov_b32_e32 v36, v44
	v_add_co_ci_u32_e64 v40, s0, v5, v40, s0
	v_add_co_u32 v33, s0, v0, v45
	v_lshlrev_b64 v[35:36], 2, v[35:36]
	v_add_co_ci_u32_e64 v34, s0, v5, v46, s0
	v_add_co_u32 v31, s0, v0, v31
	v_add_co_ci_u32_e64 v32, s0, v5, v32, s0
	v_add_co_u32 v35, s0, v0, v35
	v_add_co_ci_u32_e64 v36, s0, v5, v36, s0
	s_clause 0x5
	global_load_dword v26, v[26:27], off
	global_load_dword v75, v[37:38], off
	;; [unrolled: 1-line block ×6, first 2 shown]
	s_waitcnt vmcnt(29)
	v_lshrrev_b32_e32 v106, 16, v14
	s_waitcnt vmcnt(28)
	v_lshrrev_b32_e32 v31, 16, v19
	;; [unrolled: 2-line block ×30, first 2 shown]
.LBB0_13:
	s_or_b32 exec_lo, exec_lo, s1
	v_add_f16_e32 v0, v18, v19
	v_add_f16_e32 v5, v19, v14
	v_sub_f16_e32 v6, v31, v27
	v_add_f16_e32 v32, v27, v31
	v_sub_f16_e32 v19, v19, v18
	v_fmac_f16_e32 v14, -0.5, v0
	v_add_f16_e32 v0, v31, v106
	v_add_f16_e32 v5, v18, v5
	v_add_f16_e32 v31, v24, v13
	v_fmac_f16_e32 v106, -0.5, v32
	v_fmamk_f16 v18, v6, 0x3aee, v14
	v_add_f16_e32 v107, v27, v0
	v_add_f16_e32 v0, v58, v24
	v_fmac_f16_e32 v14, 0xbaee, v6
	v_add_f16_e32 v6, v42, v43
	v_add_f16_e32 v27, v43, v12
	v_sub_f16_e32 v32, v103, v101
	v_fmac_f16_e32 v13, -0.5, v0
	v_add_f16_e32 v0, v56, v57
	v_fmac_f16_e32 v12, -0.5, v6
	v_sub_f16_e32 v6, v105, v104
	v_add_f16_e32 v33, v57, v17
	v_fmamk_f16 v108, v19, 0xbaee, v106
	v_fmac_f16_e32 v17, -0.5, v0
	v_sub_f16_e32 v0, v99, v98
	v_fmac_f16_e32 v106, 0x3aee, v19
	v_fmamk_f16 v19, v6, 0x3aee, v12
	v_fmac_f16_e32 v12, 0xbaee, v6
	v_fmamk_f16 v6, v32, 0x3aee, v13
	v_add_f16_e32 v34, v54, v55
	v_fmac_f16_e32 v13, 0xbaee, v32
	v_fmamk_f16 v32, v0, 0x3aee, v17
	v_add_f16_e32 v35, v69, v71
	v_fmac_f16_e32 v17, 0xbaee, v0
	v_add_f16_e32 v0, v65, v66
	v_add_f16_e32 v36, v55, v16
	v_fmac_f16_e32 v16, -0.5, v34
	v_sub_f16_e32 v34, v95, v93
	v_add_f16_e32 v37, v71, v15
	v_fmac_f16_e32 v15, -0.5, v35
	v_sub_f16_e32 v35, v94, v90
	;; [unrolled: 3-line block ×3, first 2 shown]
	v_fmamk_f16 v38, v34, 0x3aee, v16
	v_fmac_f16_e32 v16, 0xbaee, v34
	v_fmamk_f16 v34, v35, 0x3aee, v15
	v_add_f16_e32 v39, v62, v63
	v_fmac_f16_e32 v15, 0xbaee, v35
	v_fmamk_f16 v35, v0, 0x3aee, v21
	v_add_f16_e32 v44, v74, v75
	v_fmac_f16_e32 v21, 0xbaee, v0
	v_add_f16_e32 v0, v73, v72
	v_add_f16_e32 v41, v63, v20
	v_fmac_f16_e32 v20, -0.5, v39
	v_sub_f16_e32 v39, v85, v81
	v_add_f16_e32 v46, v75, v26
	v_fmac_f16_e32 v26, -0.5, v44
	v_sub_f16_e32 v44, v79, v77
	;; [unrolled: 3-line block ×3, first 2 shown]
	v_mad_u32_u24 v109, v7, 6, 0
	v_fmamk_f16 v45, v39, 0x3aee, v20
	v_fmac_f16_e32 v20, 0xbaee, v39
	v_fmamk_f16 v39, v44, 0x3aee, v26
	v_fmac_f16_e32 v26, 0xbaee, v44
	;; [unrolled: 2-line block ×3, first 2 shown]
	v_add_f16_e32 v0, v42, v27
	v_mad_i32_i24 v110, v8, 6, 0
	v_mad_i32_i24 v111, v9, 6, 0
	ds_write_b16 v109, v5
	v_add_f16_e32 v5, v58, v31
	ds_write_b16 v109, v18 offset:2
	ds_write_b16 v109, v14 offset:4
	ds_write_b16 v110, v0
	ds_write_b16 v110, v19 offset:2
	ds_write_b16 v110, v12 offset:4
	ds_write_b16 v111, v5
	v_add_f16_e32 v5, v56, v33
	v_mad_i32_i24 v0, v10, 6, 0
	ds_write_b16 v111, v6 offset:2
	v_add_f16_e32 v6, v54, v36
	v_mad_i32_i24 v12, v11, 6, 0
	ds_write_b16 v111, v13 offset:4
	ds_write_b16 v0, v5
	ds_write_b16 v0, v32 offset:2
	ds_write_b16 v0, v17 offset:4
	ds_write_b16 v12, v6
	v_add_f16_e32 v5, v69, v37
	v_mad_i32_i24 v13, v23, 6, 0
	v_add_f16_e32 v6, v65, v40
	v_mad_i32_i24 v112, v25, 6, 0
	ds_write_b16 v12, v38 offset:2
	ds_write_b16 v12, v16 offset:4
	ds_write_b16 v13, v5
	ds_write_b16 v13, v34 offset:2
	ds_write_b16 v13, v15 offset:4
	ds_write_b16 v112, v6
	v_add_f16_e32 v5, v62, v41
	v_mad_i32_i24 v113, v28, 6, 0
	v_add_f16_e32 v6, v74, v46
	v_mad_i32_i24 v114, v29, 6, 0
	;; [unrolled: 2-line block ×3, first 2 shown]
	s_load_dwordx2 s[4:5], s[4:5], 0x0
	ds_write_b16 v112, v35 offset:2
	ds_write_b16 v112, v21 offset:4
	ds_write_b16 v113, v5
	ds_write_b16 v113, v45 offset:2
	ds_write_b16 v113, v20 offset:4
	ds_write_b16 v114, v6
	;; [unrolled: 3-line block ×3, first 2 shown]
	ds_write_b16 v115, v44 offset:2
	ds_write_b16 v115, v22 offset:4
	v_lshlrev_b32_e32 v6, 2, v28
	v_lshlrev_b32_e32 v17, 2, v10
	;; [unrolled: 1-line block ×5, first 2 shown]
	v_sub_nc_u32_e32 v38, v113, v6
	v_add_f16_e32 v6, v104, v105
	v_add_f16_e32 v105, v105, v102
	v_sub_nc_u32_e32 v20, v0, v17
	v_lshlrev_b32_e32 v18, 2, v11
	v_sub_nc_u32_e32 v40, v114, v15
	v_fmac_f16_e32 v102, -0.5, v6
	v_sub_f16_e32 v6, v43, v42
	v_add_f16_e32 v42, v104, v105
	v_lshl_add_u32 v15, v7, 1, 0
	v_lshlrev_b32_e32 v19, 2, v23
	v_add_f16_e32 v43, v101, v103
	v_fmamk_f16 v104, v6, 0xbaee, v102
	v_fmac_f16_e32 v102, 0x3aee, v6
	v_add_f16_e32 v6, v103, v100
	s_waitcnt lgkmcnt(0)
	s_barrier
	buffer_gl0_inv
	v_lshl_add_u32 v14, v9, 1, 0
	v_add_f16_e32 v6, v101, v6
	v_sub_nc_u32_e32 v26, v112, v5
	v_sub_nc_u32_e32 v27, v115, v16
	v_lshl_add_u32 v16, v8, 1, 0
	ds_read_u16 v34, v20
	v_sub_nc_u32_e32 v21, v12, v18
	ds_read_u16 v86, v15 offset:4752
	ds_read_u16 v82, v15 offset:4968
	;; [unrolled: 1-line block ×3, first 2 shown]
	v_sub_nc_u32_e32 v22, v13, v19
	ds_read_u16 v37, v15
	ds_read_u16 v92, v15 offset:2160
	ds_read_u16 v91, v15 offset:2376
	;; [unrolled: 1-line block ×13, first 2 shown]
	ds_read_u16 v36, v21
	ds_read_u16 v35, v22
	;; [unrolled: 1-line block ×6, first 2 shown]
	ds_read_u16 v96, v15 offset:4536
	ds_read_u16 v97, v15 offset:4320
	;; [unrolled: 1-line block ×3, first 2 shown]
	ds_read_u16 v39, v14
	ds_read_u16 v41, v16
	ds_read_u16 v47, v15 offset:6264
	s_waitcnt lgkmcnt(0)
	s_barrier
	buffer_gl0_inv
	ds_write_b16 v109, v107
	ds_write_b16 v109, v108 offset:2
	ds_write_b16 v109, v106 offset:4
	ds_write_b16 v110, v42
	v_fmac_f16_e32 v100, -0.5, v43
	v_sub_f16_e32 v24, v24, v58
	ds_write_b16 v110, v104 offset:2
	ds_write_b16 v110, v102 offset:4
	v_add_f16_e32 v42, v98, v99
	ds_write_b16 v111, v6
	v_add_f16_e32 v6, v99, v70
	v_fmamk_f16 v43, v24, 0xbaee, v100
	v_fmac_f16_e32 v100, 0x3aee, v24
	v_fmac_f16_e32 v70, -0.5, v42
	v_sub_f16_e32 v24, v57, v56
	v_add_f16_e32 v42, v98, v6
	v_add_f16_e32 v6, v93, v95
	ds_write_b16 v111, v43 offset:2
	ds_write_b16 v111, v100 offset:4
	v_add_f16_e32 v56, v95, v68
	v_fmamk_f16 v43, v24, 0xbaee, v70
	v_fmac_f16_e32 v70, 0x3aee, v24
	v_add_f16_e32 v24, v90, v94
	v_fmac_f16_e32 v68, -0.5, v6
	v_sub_f16_e32 v6, v55, v54
	v_add_f16_e32 v54, v94, v67
	v_add_f16_e32 v55, v93, v56
	v_fmac_f16_e32 v67, -0.5, v24
	v_sub_f16_e32 v24, v71, v69
	v_fmamk_f16 v56, v6, 0xbaee, v68
	v_fmac_f16_e32 v68, 0x3aee, v6
	v_add_f16_e32 v6, v84, v88
	v_add_f16_e32 v58, v88, v64
	v_fmamk_f16 v57, v24, 0xbaee, v67
	v_fmac_f16_e32 v67, 0x3aee, v24
	v_add_f16_e32 v24, v81, v85
	v_fmac_f16_e32 v64, -0.5, v6
	v_sub_f16_e32 v6, v66, v65
	v_add_f16_e32 v65, v85, v61
	v_add_f16_e32 v66, v79, v60
	v_fmac_f16_e32 v61, -0.5, v24
	v_sub_f16_e32 v24, v63, v62
	v_fmamk_f16 v62, v6, 0xbaee, v64
	v_fmac_f16_e32 v64, 0x3aee, v6
	v_add_f16_e32 v6, v77, v79
	v_add_f16_e32 v63, v81, v65
	v_fmamk_f16 v65, v24, 0xbaee, v61
	v_fmac_f16_e32 v61, 0x3aee, v24
	v_add_f16_e32 v24, v76, v78
	v_fmac_f16_e32 v60, -0.5, v6
	v_sub_f16_e32 v6, v75, v74
	v_add_f16_e32 v69, v78, v59
	ds_write_b16 v0, v42
	ds_write_b16 v0, v43 offset:2
	ds_write_b16 v0, v70 offset:4
	ds_write_b16 v12, v55
	v_fmac_f16_e32 v59, -0.5, v24
	v_sub_f16_e32 v24, v72, v73
	v_fmamk_f16 v71, v6, 0xbaee, v60
	v_fmac_f16_e32 v60, 0x3aee, v6
	v_and_b32_e32 v6, 0xff, v7
	v_add_f16_e32 v58, v84, v58
	v_fmamk_f16 v72, v24, 0xbaee, v59
	v_fmac_f16_e32 v59, 0x3aee, v24
	v_add_f16_e32 v54, v90, v54
	v_mul_lo_u16 v24, 0xab, v6
	ds_write_b16 v12, v56 offset:2
	ds_write_b16 v12, v68 offset:4
	ds_write_b16 v13, v54
	ds_write_b16 v13, v57 offset:2
	ds_write_b16 v13, v67 offset:4
	ds_write_b16 v112, v58
	ds_write_b16 v112, v62 offset:2
	ds_write_b16 v112, v64 offset:4
	v_mov_b32_e32 v67, 0xaaab
	v_lshrrev_b16 v42, 9, v24
	v_and_b32_e32 v24, 0xff, v8
	v_add_f16_e32 v66, v77, v66
	v_mov_b32_e32 v73, 3
	v_mul_u32_u24_sdwa v57, v9, v67 dst_sel:DWORD dst_unused:UNUSED_PAD src0_sel:WORD_0 src1_sel:DWORD
	v_mul_lo_u16 v43, v42, 3
	v_mul_lo_u16 v55, 0xab, v24
	v_add_f16_e32 v69, v76, v69
	ds_write_b16 v113, v63
	ds_write_b16 v113, v65 offset:2
	ds_write_b16 v113, v61 offset:4
	ds_write_b16 v114, v66
	v_sub_nc_u16 v54, v7, v43
	v_lshrrev_b16 v43, 9, v55
	ds_write_b16 v114, v71 offset:2
	ds_write_b16 v114, v60 offset:4
	ds_write_b16 v115, v69
	ds_write_b16 v115, v72 offset:2
	ds_write_b16 v115, v59 offset:4
	v_lshlrev_b32_sdwa v58, v73, v54 dst_sel:DWORD dst_unused:UNUSED_PAD src0_sel:DWORD src1_sel:BYTE_0
	v_mul_lo_u16 v55, v43, 3
	s_waitcnt lgkmcnt(0)
	s_barrier
	buffer_gl0_inv
	global_load_dwordx2 v[69:70], v58, s[12:13]
	v_sub_nc_u16 v56, v8, v55
	v_lshrrev_b32_e32 v55, 17, v57
	v_mul_u32_u24_sdwa v57, v10, v67 dst_sel:DWORD dst_unused:UNUSED_PAD src0_sel:WORD_0 src1_sel:DWORD
	v_mul_u32_u24_sdwa v66, v25, v67 dst_sel:DWORD dst_unused:UNUSED_PAD src0_sel:WORD_0 src1_sel:DWORD
	v_mul_lo_u16 v6, v6, 57
	v_lshlrev_b32_sdwa v59, v73, v56 dst_sel:DWORD dst_unused:UNUSED_PAD src0_sel:DWORD src1_sel:BYTE_0
	v_mul_lo_u16 v60, v55, 3
	v_lshrrev_b32_e32 v57, 17, v57
	v_cmp_gt_u32_e64 s0, 0x5a, v7
	v_lshrrev_b16 v6, 9, v6
	global_load_dwordx2 v[71:72], v59, s[12:13]
	v_sub_nc_u16 v58, v9, v60
	v_mul_u32_u24_sdwa v60, v11, v67 dst_sel:DWORD dst_unused:UNUSED_PAD src0_sel:WORD_0 src1_sel:DWORD
	v_mul_lo_u16 v59, v57, 3
	v_lshlrev_b32_sdwa v61, v73, v58 dst_sel:DWORD dst_unused:UNUSED_PAD src0_sel:DWORD src1_sel:WORD_0
	v_lshrrev_b32_e32 v60, 17, v60
	v_sub_nc_u16 v65, v10, v59
	global_load_dwordx2 v[77:78], v61, s[12:13]
	v_mul_lo_u16 v62, v60, 3
	v_lshlrev_b32_sdwa v59, v73, v65 dst_sel:DWORD dst_unused:UNUSED_PAD src0_sel:DWORD src1_sel:WORD_0
	v_sub_nc_u16 v63, v11, v62
	v_lshlrev_b32_sdwa v62, v73, v63 dst_sel:DWORD dst_unused:UNUSED_PAD src0_sel:DWORD src1_sel:WORD_0
	s_clause 0x1
	global_load_dwordx2 v[98:99], v62, s[12:13]
	global_load_dwordx2 v[93:94], v59, s[12:13]
	v_mul_u32_u24_sdwa v61, v23, v67 dst_sel:DWORD dst_unused:UNUSED_PAD src0_sel:WORD_0 src1_sel:DWORD
	v_lshrrev_b32_e32 v62, 17, v66
	v_lshrrev_b32_e32 v61, 17, v61
	v_mul_lo_u16 v68, v62, 3
	v_mul_lo_u16 v59, v61, 3
	v_sub_nc_u16 v25, v25, v68
	v_sub_nc_u16 v64, v23, v59
	v_mul_u32_u24_sdwa v23, v28, v67 dst_sel:DWORD dst_unused:UNUSED_PAD src0_sel:WORD_0 src1_sel:DWORD
	v_lshlrev_b32_sdwa v74, v73, v25 dst_sel:DWORD dst_unused:UNUSED_PAD src0_sel:DWORD src1_sel:WORD_0
	v_lshlrev_b32_sdwa v66, v73, v64 dst_sel:DWORD dst_unused:UNUSED_PAD src0_sel:DWORD src1_sel:WORD_0
	v_lshrrev_b32_e32 v59, 17, v23
	v_mul_u32_u24_sdwa v23, v29, v67 dst_sel:DWORD dst_unused:UNUSED_PAD src0_sel:WORD_0 src1_sel:DWORD
	s_clause 0x1
	global_load_dwordx2 v[102:103], v74, s[12:13]
	global_load_dwordx2 v[100:101], v66, s[12:13]
	v_mul_lo_u16 v68, v59, 3
	v_lshrrev_b32_e32 v66, 17, v23
	v_mul_u32_u24_sdwa v23, v30, v67 dst_sel:DWORD dst_unused:UNUSED_PAD src0_sel:WORD_0 src1_sel:DWORD
	v_sub_nc_u16 v28, v28, v68
	v_mul_lo_u16 v68, v66, 3
	v_lshrrev_b32_e32 v67, 17, v23
	v_sub_nc_u16 v68, v29, v68
	v_mul_lo_u16 v23, v67, 3
	v_sub_nc_u16 v29, v30, v23
	v_lshlrev_b32_sdwa v23, v73, v29 dst_sel:DWORD dst_unused:UNUSED_PAD src0_sel:DWORD src1_sel:WORD_0
	global_load_dwordx2 v[108:109], v23, s[12:13]
	v_lshlrev_b32_sdwa v74, v73, v28 dst_sel:DWORD dst_unused:UNUSED_PAD src0_sel:DWORD src1_sel:WORD_0
	global_load_dwordx2 v[104:105], v74, s[12:13]
	;; [unrolled: 2-line block ×3, first 2 shown]
	ds_read_u16 v23, v15 offset:2160
	ds_read_u16 v30, v15 offset:4320
	;; [unrolled: 1-line block ×15, first 2 shown]
	ds_read_u16 v76, v15
	s_waitcnt vmcnt(9)
	v_mul_f16_sdwa v120, v97, v70 dst_sel:DWORD dst_unused:UNUSED_PAD src0_sel:DWORD src1_sel:WORD_1
	s_waitcnt lgkmcnt(14)
	v_mul_f16_sdwa v81, v30, v70 dst_sel:DWORD dst_unused:UNUSED_PAD src0_sel:DWORD src1_sel:WORD_1
	v_mul_f16_sdwa v79, v23, v69 dst_sel:DWORD dst_unused:UNUSED_PAD src0_sel:DWORD src1_sel:WORD_1
	;; [unrolled: 1-line block ×3, first 2 shown]
	v_fmac_f16_e32 v120, v30, v70
	v_fma_f16 v92, v92, v69, -v79
	v_fmac_f16_e32 v119, v23, v69
	v_fma_f16 v23, v97, v70, -v81
	s_waitcnt vmcnt(8) lgkmcnt(13)
	v_mul_f16_sdwa v85, v73, v71 dst_sel:DWORD dst_unused:UNUSED_PAD src0_sel:DWORD src1_sel:WORD_1
	s_waitcnt lgkmcnt(12)
	v_mul_f16_sdwa v30, v74, v72 dst_sel:DWORD dst_unused:UNUSED_PAD src0_sel:DWORD src1_sel:WORD_1
	v_mul_f16_sdwa v84, v91, v71 dst_sel:DWORD dst_unused:UNUSED_PAD src0_sel:DWORD src1_sel:WORD_1
	;; [unrolled: 1-line block ×3, first 2 shown]
	v_fma_f16 v90, v91, v71, -v85
	v_fma_f16 v91, v96, v72, -v30
	v_fmac_f16_e32 v84, v73, v71
	v_fmac_f16_e32 v88, v74, v72
	s_waitcnt vmcnt(7) lgkmcnt(11)
	v_mul_f16_sdwa v30, v95, v78 dst_sel:DWORD dst_unused:UNUSED_PAD src0_sel:DWORD src1_sel:WORD_1
	v_mul_f16_sdwa v73, v86, v78 dst_sel:DWORD dst_unused:UNUSED_PAD src0_sel:DWORD src1_sel:WORD_1
	s_waitcnt lgkmcnt(8)
	v_mul_f16_sdwa v69, v75, v77 dst_sel:DWORD dst_unused:UNUSED_PAD src0_sel:DWORD src1_sel:WORD_1
	v_mul_f16_sdwa v79, v89, v77 dst_sel:DWORD dst_unused:UNUSED_PAD src0_sel:DWORD src1_sel:WORD_1
	v_fma_f16 v85, v86, v78, -v30
	ds_read_u16 v86, v15 offset:5400
	v_fmac_f16_e32 v73, v95, v78
	v_fma_f16 v81, v89, v77, -v69
	v_fmac_f16_e32 v79, v75, v77
	s_waitcnt vmcnt(6) lgkmcnt(7)
	v_mul_f16_sdwa v70, v113, v98 dst_sel:DWORD dst_unused:UNUSED_PAD src0_sel:DWORD src1_sel:WORD_1
	s_waitcnt vmcnt(5)
	v_mul_f16_sdwa v30, v110, v94 dst_sel:DWORD dst_unused:UNUSED_PAD src0_sel:DWORD src1_sel:WORD_1
	v_mul_f16_sdwa v74, v82, v94 dst_sel:DWORD dst_unused:UNUSED_PAD src0_sel:DWORD src1_sel:WORD_1
	;; [unrolled: 1-line block ×5, first 2 shown]
	v_fma_f16 v78, v82, v94, -v30
	ds_read_u16 v82, v15 offset:5616
	v_fma_f16 v77, v87, v93, -v69
	v_fmac_f16_e32 v75, v112, v93
	v_mul_f16_sdwa v69, v83, v98 dst_sel:DWORD dst_unused:UNUSED_PAD src0_sel:DWORD src1_sel:WORD_1
	v_fmac_f16_e32 v74, v110, v94
	v_mul_f16_sdwa v30, v80, v99 dst_sel:DWORD dst_unused:UNUSED_PAD src0_sel:DWORD src1_sel:WORD_1
	v_fma_f16 v70, v83, v98, -v70
	v_fma_f16 v71, v80, v99, -v71
	ds_read_u16 v83, v15 offset:5832
	ds_read_u16 v87, v15 offset:6048
	;; [unrolled: 1-line block ×3, first 2 shown]
	ds_read_u16 v93, v20
	ds_read_u16 v94, v14
	;; [unrolled: 1-line block ×3, first 2 shown]
	v_fmac_f16_e32 v69, v113, v98
	v_fmac_f16_e32 v30, v111, v99
	v_add_f16_e32 v110, v36, v70
	ds_read_u16 v122, v21
	ds_read_u16 v123, v22
	;; [unrolled: 1-line block ×6, first 2 shown]
	s_waitcnt vmcnt(0) lgkmcnt(0)
	s_barrier
	buffer_gl0_inv
	v_mul_f16_sdwa v97, v115, v102 dst_sel:DWORD dst_unused:UNUSED_PAD src0_sel:DWORD src1_sel:WORD_1
	v_mul_f16_sdwa v80, v114, v100 dst_sel:DWORD dst_unused:UNUSED_PAD src0_sel:DWORD src1_sel:WORD_1
	;; [unrolled: 1-line block ×4, first 2 shown]
	v_fma_f16 v52, v52, v100, -v80
	v_mul_f16_sdwa v80, v53, v101 dst_sel:DWORD dst_unused:UNUSED_PAD src0_sel:DWORD src1_sel:WORD_1
	v_fma_f16 v53, v53, v101, -v96
	v_mul_f16_sdwa v96, v51, v102 dst_sel:DWORD dst_unused:UNUSED_PAD src0_sel:DWORD src1_sel:WORD_1
	v_fmac_f16_e32 v72, v114, v100
	v_add_f16_e32 v111, v35, v52
	v_fmac_f16_e32 v80, v86, v101
	v_fma_f16 v86, v51, v102, -v97
	v_mul_f16_sdwa v51, v82, v103 dst_sel:DWORD dst_unused:UNUSED_PAD src0_sel:DWORD src1_sel:WORD_1
	v_mul_f16_sdwa v97, v50, v103 dst_sel:DWORD dst_unused:UNUSED_PAD src0_sel:DWORD src1_sel:WORD_1
	v_fmac_f16_e32 v96, v115, v102
	v_add_f16_e32 v114, v33, v86
	v_fma_f16 v100, v50, v103, -v51
	v_fmac_f16_e32 v97, v82, v103
	v_add_f16_e32 v112, v86, v100
	v_fmac_f16_e32 v33, -0.5, v112
	v_sub_f16_e32 v112, v96, v97
	v_mul_f16_sdwa v98, v116, v104 dst_sel:DWORD dst_unused:UNUSED_PAD src0_sel:DWORD src1_sel:WORD_1
	v_mul_f16_sdwa v50, v83, v105 dst_sel:DWORD dst_unused:UNUSED_PAD src0_sel:DWORD src1_sel:WORD_1
	;; [unrolled: 1-line block ×3, first 2 shown]
	v_fma_f16 v82, v48, v104, -v98
	v_mul_f16_sdwa v98, v49, v105 dst_sel:DWORD dst_unused:UNUSED_PAD src0_sel:DWORD src1_sel:WORD_1
	v_mul_f16_sdwa v48, v117, v106 dst_sel:DWORD dst_unused:UNUSED_PAD src0_sel:DWORD src1_sel:WORD_1
	v_fma_f16 v101, v49, v105, -v50
	v_mul_f16_sdwa v49, v87, v107 dst_sel:DWORD dst_unused:UNUSED_PAD src0_sel:DWORD src1_sel:WORD_1
	v_fmac_f16_e32 v99, v116, v104
	v_mul_f16_sdwa v102, v44, v106 dst_sel:DWORD dst_unused:UNUSED_PAD src0_sel:DWORD src1_sel:WORD_1
	v_fmac_f16_e32 v98, v83, v105
	v_fma_f16 v83, v44, v106, -v48
	v_mul_f16_sdwa v103, v45, v107 dst_sel:DWORD dst_unused:UNUSED_PAD src0_sel:DWORD src1_sel:WORD_1
	v_fma_f16 v104, v45, v107, -v49
	v_mul_f16_sdwa v44, v118, v108 dst_sel:DWORD dst_unused:UNUSED_PAD src0_sel:DWORD src1_sel:WORD_1
	v_mul_f16_sdwa v45, v89, v109 dst_sel:DWORD dst_unused:UNUSED_PAD src0_sel:DWORD src1_sel:WORD_1
	v_fmac_f16_e32 v102, v117, v106
	v_mul_f16_sdwa v105, v46, v108 dst_sel:DWORD dst_unused:UNUSED_PAD src0_sel:DWORD src1_sel:WORD_1
	v_fmac_f16_e32 v103, v87, v107
	v_fma_f16 v106, v46, v108, -v44
	v_add_f16_e32 v44, v92, v23
	v_fma_f16 v107, v47, v109, -v45
	v_add_f16_e32 v45, v119, v120
	v_add_f16_e32 v46, v37, v92
	v_mul_f16_sdwa v87, v47, v109 dst_sel:DWORD dst_unused:UNUSED_PAD src0_sel:DWORD src1_sel:WORD_1
	v_fmac_f16_e32 v37, -0.5, v44
	v_sub_f16_e32 v44, v119, v120
	v_add_f16_e32 v47, v76, v119
	v_fmac_f16_e32 v76, -0.5, v45
	v_add_f16_e32 v45, v46, v23
	v_sub_f16_e32 v23, v92, v23
	v_fmamk_f16 v46, v44, 0x3aee, v37
	v_fmac_f16_e32 v37, 0xbaee, v44
	v_add_f16_e32 v44, v90, v91
	v_fmac_f16_e32 v87, v89, v109
	v_fmamk_f16 v92, v23, 0xbaee, v76
	v_fmac_f16_e32 v76, 0x3aee, v23
	v_add_f16_e32 v23, v81, v85
	v_add_f16_e32 v89, v47, v120
	;; [unrolled: 1-line block ×3, first 2 shown]
	v_fmac_f16_e32 v41, -0.5, v44
	v_sub_f16_e32 v44, v84, v88
	v_add_f16_e32 v49, v39, v81
	v_fmac_f16_e32 v39, -0.5, v23
	v_sub_f16_e32 v23, v79, v73
	v_fmac_f16_e32 v105, v118, v108
	v_add_f16_e32 v48, v77, v78
	v_fmamk_f16 v51, v44, 0x3aee, v41
	v_fmac_f16_e32 v41, 0xbaee, v44
	v_fmamk_f16 v44, v23, 0x3aee, v39
	v_add_f16_e32 v108, v70, v71
	v_fmac_f16_e32 v39, 0xbaee, v23
	v_add_f16_e32 v23, v52, v53
	v_add_f16_e32 v50, v34, v77
	v_fmac_f16_e32 v34, -0.5, v48
	v_sub_f16_e32 v48, v75, v74
	v_fmac_f16_e32 v36, -0.5, v108
	v_sub_f16_e32 v108, v69, v30
	;; [unrolled: 2-line block ×3, first 2 shown]
	v_add_f16_e32 v113, v82, v101
	v_fmamk_f16 v109, v48, 0x3aee, v34
	v_fmac_f16_e32 v34, 0xbaee, v48
	v_fmamk_f16 v48, v108, 0x3aee, v36
	v_fmac_f16_e32 v36, 0xbaee, v108
	v_fmamk_f16 v108, v23, 0x3aee, v35
	v_add_f16_e32 v115, v32, v82
	v_fmac_f16_e32 v32, -0.5, v113
	v_sub_f16_e32 v113, v99, v98
	v_fmac_f16_e32 v35, 0xbaee, v23
	v_add_f16_e32 v23, v83, v104
	v_fmamk_f16 v116, v112, 0x3aee, v33
	v_fmac_f16_e32 v33, 0xbaee, v112
	v_fmamk_f16 v112, v113, 0x3aee, v32
	v_fmac_f16_e32 v32, 0xbaee, v113
	v_add_f16_e32 v113, v31, v83
	v_fmac_f16_e32 v31, -0.5, v23
	v_add_f16_e32 v117, v106, v107
	v_mov_b32_e32 v23, 1
	v_mov_b32_e32 v119, 18
	v_sub_f16_e32 v118, v102, v103
	v_add_f16_e32 v120, v5, v106
	v_fmac_f16_e32 v5, -0.5, v117
	v_sub_f16_e32 v117, v105, v87
	v_lshlrev_b32_sdwa v54, v23, v54 dst_sel:DWORD dst_unused:UNUSED_PAD src0_sel:DWORD src1_sel:BYTE_0
	v_mul_u32_u24_sdwa v42, v42, v119 dst_sel:DWORD dst_unused:UNUSED_PAD src0_sel:WORD_0 src1_sel:DWORD
	v_mul_u32_u24_sdwa v38, v43, v119 dst_sel:DWORD dst_unused:UNUSED_PAD src0_sel:WORD_0 src1_sel:DWORD
	v_lshlrev_b32_sdwa v40, v23, v56 dst_sel:DWORD dst_unused:UNUSED_PAD src0_sel:DWORD src1_sel:BYTE_0
	v_fmamk_f16 v121, v118, 0x3aee, v31
	v_fmac_f16_e32 v31, 0xbaee, v118
	v_fmamk_f16 v118, v117, 0x3aee, v5
	v_fmac_f16_e32 v5, 0xbaee, v117
	v_add3_u32 v117, 0, v42, v54
	v_add3_u32 v56, 0, v38, v40
	v_add_f16_e32 v38, v47, v91
	v_lshlrev_b32_sdwa v40, v23, v58 dst_sel:DWORD dst_unused:UNUSED_PAD src0_sel:DWORD src1_sel:WORD_0
	v_mul_u32_u24_e32 v42, 18, v55
	ds_write_b16 v117, v45
	ds_write_b16 v117, v46 offset:6
	ds_write_b16 v117, v37 offset:12
	v_lshlrev_b32_sdwa v37, v23, v65 dst_sel:DWORD dst_unused:UNUSED_PAD src0_sel:DWORD src1_sel:WORD_0
	v_mul_u32_u24_e32 v43, 18, v57
	ds_write_b16 v56, v38
	v_add3_u32 v58, 0, v42, v40
	v_add_f16_e32 v38, v49, v85
	ds_write_b16 v56, v51 offset:6
	v_add3_u32 v65, 0, v43, v37
	v_add_f16_e32 v37, v50, v78
	ds_write_b16 v56, v41 offset:12
	ds_write_b16 v58, v38
	ds_write_b16 v58, v44 offset:6
	ds_write_b16 v58, v39 offset:12
	ds_write_b16 v65, v37
	v_lshlrev_b32_sdwa v37, v23, v63 dst_sel:DWORD dst_unused:UNUSED_PAD src0_sel:DWORD src1_sel:WORD_0
	v_mul_u32_u24_e32 v38, 18, v60
	v_lshlrev_b32_sdwa v39, v23, v64 dst_sel:DWORD dst_unused:UNUSED_PAD src0_sel:DWORD src1_sel:WORD_0
	v_mul_u32_u24_e32 v40, 18, v61
	ds_write_b16 v65, v109 offset:6
	ds_write_b16 v65, v34 offset:12
	v_add_f16_e32 v34, v110, v71
	v_add3_u32 v60, 0, v38, v37
	v_lshlrev_b32_sdwa v25, v23, v25 dst_sel:DWORD dst_unused:UNUSED_PAD src0_sel:DWORD src1_sel:WORD_0
	v_mul_u32_u24_e32 v38, 18, v62
	v_add3_u32 v61, 0, v40, v39
	v_add_f16_e32 v37, v111, v53
	ds_write_b16 v60, v34
	ds_write_b16 v60, v48 offset:6
	ds_write_b16 v60, v36 offset:12
	ds_write_b16 v61, v37
	v_lshlrev_b32_sdwa v28, v23, v28 dst_sel:DWORD dst_unused:UNUSED_PAD src0_sel:DWORD src1_sel:WORD_0
	v_mul_u32_u24_e32 v36, 18, v59
	v_add3_u32 v25, 0, v38, v25
	v_add_f16_e32 v34, v114, v100
	ds_write_b16 v61, v108 offset:6
	ds_write_b16 v61, v35 offset:12
	ds_write_b16 v25, v34
	ds_write_b16 v25, v116 offset:6
	v_add3_u32 v28, 0, v36, v28
	v_add_f16_e32 v34, v115, v101
	v_lshlrev_b32_sdwa v35, v23, v68 dst_sel:DWORD dst_unused:UNUSED_PAD src0_sel:DWORD src1_sel:WORD_0
	v_mul_u32_u24_e32 v36, 18, v66
	ds_write_b16 v25, v33 offset:12
	v_lshlrev_b32_sdwa v29, v23, v29 dst_sel:DWORD dst_unused:UNUSED_PAD src0_sel:DWORD src1_sel:WORD_0
	v_mul_u32_u24_e32 v33, 18, v67
	ds_write_b16 v28, v34
	v_add3_u32 v62, 0, v36, v35
	v_add_f16_e32 v34, v113, v104
	ds_write_b16 v28, v112 offset:6
	v_add3_u32 v29, 0, v33, v29
	v_add_f16_e32 v33, v120, v107
	ds_write_b16 v28, v32 offset:12
	ds_write_b16 v62, v34
	ds_write_b16 v62, v121 offset:6
	ds_write_b16 v62, v31 offset:12
	ds_write_b16 v29, v33
	ds_write_b16 v29, v118 offset:6
	ds_write_b16 v29, v5 offset:12
	v_add_f16_e32 v31, v84, v88
	v_add_f16_e32 v64, v95, v84
	;; [unrolled: 1-line block ×3, first 2 shown]
	s_waitcnt lgkmcnt(0)
	s_barrier
	v_fmac_f16_e32 v95, -0.5, v31
	v_sub_f16_e32 v31, v90, v91
	v_add_f16_e32 v64, v64, v88
	buffer_gl0_inv
	ds_read_u16 v57, v27
	ds_read_u16 v33, v15
	ds_read_u16 v43, v15 offset:864
	ds_read_u16 v42, v15 offset:2808
	ds_read_u16 v50, v15 offset:4536
	ds_read_u16 v34, v15 offset:4752
	ds_read_u16 v68, v15 offset:2592
	ds_read_u16 v36, v15 offset:2376
	ds_read_u16 v45, v15 offset:2160
	ds_read_u16 v37, v15 offset:1728
	ds_read_u16 v59, v15 offset:1512
	ds_read_u16 v39, v15 offset:1080
	ds_read_u16 v41, v15 offset:4320
	ds_read_u16 v44, v15 offset:4104
	ds_read_u16 v108, v15 offset:3888
	ds_read_u16 v38, v15 offset:3672
	ds_read_u16 v48, v15 offset:3456
	ds_read_u16 v109, v15 offset:3240
	ds_read_u16 v40, v15 offset:3024
	ds_read_u16 v54, v15 offset:6048
	ds_read_u16 v55, v15 offset:5832
	ds_read_u16 v46, v15 offset:5616
	ds_read_u16 v47, v15 offset:5400
	ds_read_u16 v51, v15 offset:5184
	ds_read_u16 v49, v15 offset:4968
	ds_read_u16 v110, v26
	ds_read_u16 v63, v20
	;; [unrolled: 1-line block ×4, first 2 shown]
	ds_read_u16 v35, v15 offset:6264
	s_waitcnt lgkmcnt(0)
	s_barrier
	buffer_gl0_inv
	ds_write_b16 v117, v89
	ds_write_b16 v117, v92 offset:6
	ds_write_b16 v117, v76 offset:12
	v_fmamk_f16 v67, v31, 0xbaee, v95
	v_fmac_f16_e32 v95, 0x3aee, v31
	ds_write_b16 v56, v64
	v_add_f16_e32 v31, v94, v79
	v_fmac_f16_e32 v94, -0.5, v66
	v_sub_f16_e32 v64, v81, v85
	v_add_f16_e32 v66, v75, v74
	ds_write_b16 v56, v67 offset:6
	ds_write_b16 v56, v95 offset:12
	v_add_f16_e32 v67, v93, v75
	v_fmamk_f16 v56, v64, 0xbaee, v94
	v_fmac_f16_e32 v93, -0.5, v66
	v_sub_f16_e32 v66, v77, v78
	v_add_f16_e32 v31, v31, v73
	v_fmac_f16_e32 v94, 0x3aee, v64
	ds_write_b16 v58, v56 offset:6
	v_add_f16_e32 v64, v123, v72
	v_fmamk_f16 v56, v66, 0xbaee, v93
	ds_write_b16 v58, v31
	v_add_f16_e32 v31, v67, v74
	v_fmac_f16_e32 v93, 0x3aee, v66
	ds_write_b16 v58, v94 offset:12
	ds_write_b16 v65, v31
	ds_write_b16 v65, v56 offset:6
	ds_write_b16 v65, v93 offset:12
	v_add_f16_e32 v56, v72, v80
	v_add_f16_e32 v31, v69, v30
	;; [unrolled: 1-line block ×3, first 2 shown]
	v_sub_f16_e32 v52, v52, v53
	v_add_f16_e32 v65, v126, v99
	v_fmac_f16_e32 v123, -0.5, v56
	v_fmac_f16_e32 v122, -0.5, v31
	v_sub_f16_e32 v31, v70, v71
	v_add_f16_e32 v30, v58, v30
	v_add_f16_e32 v56, v96, v97
	v_fmamk_f16 v58, v52, 0xbaee, v123
	v_fmac_f16_e32 v123, 0x3aee, v52
	v_add_f16_e32 v52, v99, v98
	v_fmamk_f16 v53, v31, 0xbaee, v122
	v_fmac_f16_e32 v122, 0x3aee, v31
	v_add_f16_e32 v31, v64, v80
	v_add_f16_e32 v64, v127, v96
	v_fmac_f16_e32 v127, -0.5, v56
	v_sub_f16_e32 v56, v86, v100
	v_fmac_f16_e32 v126, -0.5, v52
	v_sub_f16_e32 v52, v82, v101
	v_add_f16_e32 v69, v124, v102
	v_add_f16_e32 v70, v125, v105
	v_fmamk_f16 v66, v56, 0xbaee, v127
	v_fmac_f16_e32 v127, 0x3aee, v56
	v_add_f16_e32 v56, v65, v98
	v_add_f16_e32 v65, v102, v103
	v_fmamk_f16 v67, v52, 0xbaee, v126
	v_fmac_f16_e32 v126, 0x3aee, v52
	v_add_f16_e32 v52, v105, v87
	ds_write_b16 v60, v30
	v_fmac_f16_e32 v124, -0.5, v65
	v_sub_f16_e32 v65, v83, v104
	v_mul_lo_u16 v30, v6, 9
	v_fmac_f16_e32 v125, -0.5, v52
	v_sub_f16_e32 v52, v106, v107
	v_add_f16_e32 v64, v64, v97
	v_fmamk_f16 v71, v65, 0xbaee, v124
	v_fmac_f16_e32 v124, 0x3aee, v65
	v_add_f16_e32 v65, v70, v87
	v_fmamk_f16 v70, v52, 0xbaee, v125
	v_fmac_f16_e32 v125, 0x3aee, v52
	ds_write_b16 v60, v53 offset:6
	ds_write_b16 v60, v122 offset:12
	ds_write_b16 v61, v31
	ds_write_b16 v61, v58 offset:6
	ds_write_b16 v61, v123 offset:12
	ds_write_b16 v25, v64
	ds_write_b16 v25, v66 offset:6
	ds_write_b16 v25, v127 offset:12
	v_sub_nc_u16 v25, v7, v30
	v_mov_b32_e32 v52, 9
	v_add_f16_e32 v69, v69, v103
	ds_write_b16 v28, v56
	ds_write_b16 v28, v67 offset:6
	ds_write_b16 v28, v126 offset:12
	ds_write_b16 v62, v69
	ds_write_b16 v62, v71 offset:6
	ds_write_b16 v62, v124 offset:12
	ds_write_b16 v29, v65
	ds_write_b16 v29, v70 offset:6
	v_mul_u32_u24_sdwa v28, v25, v52 dst_sel:DWORD dst_unused:UNUSED_PAD src0_sel:BYTE_0 src1_sel:DWORD
	ds_write_b16 v29, v125 offset:12
	s_waitcnt lgkmcnt(0)
	s_barrier
	buffer_gl0_inv
	v_lshlrev_b32_e32 v53, 2, v28
	v_mul_lo_u16 v28, v24, 57
	v_lshlrev_b32_sdwa v25, v23, v25 dst_sel:DWORD dst_unused:UNUSED_PAD src0_sel:DWORD src1_sel:BYTE_0
	s_clause 0x1
	global_load_dwordx4 v[64:67], v53, s[12:13] offset:24
	global_load_dwordx4 v[76:79], v53, s[12:13] offset:40
	v_lshrrev_b16 v28, 9, v28
	v_mul_lo_u16 v29, v28, 9
	v_sub_nc_u16 v29, v8, v29
	v_mul_u32_u24_sdwa v30, v29, v52 dst_sel:DWORD dst_unused:UNUSED_PAD src0_sel:BYTE_0 src1_sel:DWORD
	v_lshlrev_b32_e32 v56, 2, v30
	v_mov_b32_e32 v30, 0xe38f
	s_clause 0x1
	global_load_dwordx4 v[84:87], v56, s[12:13] offset:24
	global_load_dwordx4 v[90:93], v56, s[12:13] offset:40
	v_mul_u32_u24_sdwa v30, v9, v30 dst_sel:DWORD dst_unused:UNUSED_PAD src0_sel:WORD_0 src1_sel:DWORD
	v_lshrrev_b32_e32 v30, 19, v30
	v_mul_lo_u16 v31, v30, 9
	v_sub_nc_u16 v31, v9, v31
	v_mul_u32_u24_sdwa v52, v31, v52 dst_sel:DWORD dst_unused:UNUSED_PAD src0_sel:WORD_0 src1_sel:DWORD
	v_lshlrev_b32_e32 v52, 2, v52
	s_clause 0x4
	global_load_dwordx4 v[94:97], v52, s[12:13] offset:24
	global_load_dwordx4 v[98:101], v52, s[12:13] offset:40
	global_load_dword v102, v53, s[12:13] offset:56
	global_load_dword v103, v56, s[12:13] offset:56
	;; [unrolled: 1-line block ×3, first 2 shown]
	ds_read_u16 v56, v20
	ds_read_u16 v58, v26
	;; [unrolled: 1-line block ×3, first 2 shown]
	ds_read_u16 v60, v15 offset:2592
	ds_read_u16 v61, v15 offset:4536
	;; [unrolled: 1-line block ×4, first 2 shown]
	ds_read_u16 v26, v14
	ds_read_u16 v104, v15 offset:2376
	ds_read_u16 v105, v15 offset:4320
	;; [unrolled: 1-line block ×4, first 2 shown]
	s_waitcnt vmcnt(8) lgkmcnt(11)
	v_mul_f16_sdwa v53, v56, v64 dst_sel:DWORD dst_unused:UNUSED_PAD src0_sel:DWORD src1_sel:WORD_1
	v_mul_f16_sdwa v52, v63, v64 dst_sel:DWORD dst_unused:UNUSED_PAD src0_sel:DWORD src1_sel:WORD_1
	s_waitcnt lgkmcnt(10)
	v_mul_f16_sdwa v62, v58, v65 dst_sel:DWORD dst_unused:UNUSED_PAD src0_sel:DWORD src1_sel:WORD_1
	v_mul_f16_sdwa v69, v68, v67 dst_sel:DWORD dst_unused:UNUSED_PAD src0_sel:DWORD src1_sel:WORD_1
	s_waitcnt vmcnt(7)
	v_mul_f16_sdwa v71, v108, v77 dst_sel:DWORD dst_unused:UNUSED_PAD src0_sel:DWORD src1_sel:WORD_1
	v_fma_f16 v53, v63, v64, -v53
	v_mul_f16_sdwa v63, v110, v65 dst_sel:DWORD dst_unused:UNUSED_PAD src0_sel:DWORD src1_sel:WORD_1
	v_fmac_f16_e32 v52, v56, v64
	s_waitcnt lgkmcnt(9)
	v_mul_f16_sdwa v64, v27, v66 dst_sel:DWORD dst_unused:UNUSED_PAD src0_sel:DWORD src1_sel:WORD_1
	v_mul_f16_sdwa v56, v57, v66 dst_sel:DWORD dst_unused:UNUSED_PAD src0_sel:DWORD src1_sel:WORD_1
	v_fma_f16 v70, v110, v65, -v62
	v_fmac_f16_e32 v63, v58, v65
	s_waitcnt lgkmcnt(8)
	v_mul_f16_sdwa v58, v60, v67 dst_sel:DWORD dst_unused:UNUSED_PAD src0_sel:DWORD src1_sel:WORD_1
	v_fmac_f16_e32 v69, v60, v67
	s_waitcnt lgkmcnt(6)
	v_mul_f16_sdwa v60, v74, v76 dst_sel:DWORD dst_unused:UNUSED_PAD src0_sel:DWORD src1_sel:WORD_1
	s_waitcnt lgkmcnt(0)
	v_mul_f16_sdwa v65, v80, v77 dst_sel:DWORD dst_unused:UNUSED_PAD src0_sel:DWORD src1_sel:WORD_1
	v_fma_f16 v57, v57, v66, -v64
	v_fma_f16 v73, v68, v67, -v58
	v_mul_f16_sdwa v58, v109, v76 dst_sel:DWORD dst_unused:UNUSED_PAD src0_sel:DWORD src1_sel:WORD_1
	v_fmac_f16_e32 v56, v27, v66
	ds_read_u16 v27, v15 offset:5184
	ds_read_u16 v66, v15 offset:3672
	;; [unrolled: 1-line block ×6, first 2 shown]
	v_fma_f16 v62, v109, v76, -v60
	v_fmac_f16_e32 v58, v74, v76
	v_fma_f16 v74, v108, v77, -v65
	ds_read_u16 v108, v15 offset:5400
	ds_read_u16 v109, v15 offset:5616
	ds_read_u16 v110, v15 offset:6048
	ds_read_u16 v111, v15 offset:5832
	ds_read_u16 v112, v15 offset:4968
	ds_read_u16 v83, v15 offset:2160
	ds_read_u16 v113, v15 offset:2808
	v_mul_f16_sdwa v60, v61, v78 dst_sel:DWORD dst_unused:UNUSED_PAD src0_sel:DWORD src1_sel:WORD_1
	v_mul_f16_sdwa v75, v50, v78 dst_sel:DWORD dst_unused:UNUSED_PAD src0_sel:DWORD src1_sel:WORD_1
	v_fmac_f16_e32 v71, v80, v77
	v_mul_f16_sdwa v77, v51, v79 dst_sel:DWORD dst_unused:UNUSED_PAD src0_sel:DWORD src1_sel:WORD_1
	s_waitcnt vmcnt(6)
	v_mul_f16_sdwa v80, v59, v85 dst_sel:DWORD dst_unused:UNUSED_PAD src0_sel:DWORD src1_sel:WORD_1
	v_fma_f16 v76, v50, v78, -v60
	v_fmac_f16_e32 v75, v61, v78
	ds_read_u16 v78, v15 offset:1728
	ds_read_u16 v114, v15 offset:1080
	ds_read_u16 v88, v15
	s_waitcnt lgkmcnt(15)
	v_mul_f16_sdwa v65, v27, v79 dst_sel:DWORD dst_unused:UNUSED_PAD src0_sel:DWORD src1_sel:WORD_1
	v_mul_f16_sdwa v50, v43, v84 dst_sel:DWORD dst_unused:UNUSED_PAD src0_sel:DWORD src1_sel:WORD_1
	v_fmac_f16_e32 v77, v27, v79
	v_mul_f16_sdwa v81, v42, v87 dst_sel:DWORD dst_unused:UNUSED_PAD src0_sel:DWORD src1_sel:WORD_1
	s_waitcnt vmcnt(5)
	v_mul_f16_sdwa v61, v34, v92 dst_sel:DWORD dst_unused:UNUSED_PAD src0_sel:DWORD src1_sel:WORD_1
	v_fma_f16 v89, v51, v79, -v65
	s_waitcnt lgkmcnt(11)
	v_mul_f16_sdwa v51, v64, v84 dst_sel:DWORD dst_unused:UNUSED_PAD src0_sel:DWORD src1_sel:WORD_1
	s_waitcnt lgkmcnt(10)
	v_mul_f16_sdwa v60, v67, v85 dst_sel:DWORD dst_unused:UNUSED_PAD src0_sel:DWORD src1_sel:WORD_1
	v_fmac_f16_e32 v50, v64, v84
	v_fmac_f16_e32 v80, v67, v85
	s_waitcnt lgkmcnt(4)
	v_mul_f16_sdwa v27, v83, v86 dst_sel:DWORD dst_unused:UNUSED_PAD src0_sel:DWORD src1_sel:WORD_1
	v_fma_f16 v51, v43, v84, -v51
	v_fma_f16 v84, v59, v85, -v60
	v_mul_f16_sdwa v60, v48, v90 dst_sel:DWORD dst_unused:UNUSED_PAD src0_sel:DWORD src1_sel:WORD_1
	v_mul_f16_sdwa v59, v45, v86 dst_sel:DWORD dst_unused:UNUSED_PAD src0_sel:DWORD src1_sel:WORD_1
	v_fma_f16 v65, v45, v86, -v27
	v_mul_f16_sdwa v27, v82, v90 dst_sel:DWORD dst_unused:UNUSED_PAD src0_sel:DWORD src1_sel:WORD_1
	s_waitcnt lgkmcnt(3)
	v_mul_f16_sdwa v43, v113, v87 dst_sel:DWORD dst_unused:UNUSED_PAD src0_sel:DWORD src1_sel:WORD_1
	v_mul_f16_sdwa v45, v106, v91 dst_sel:DWORD dst_unused:UNUSED_PAD src0_sel:DWORD src1_sel:WORD_1
	v_fmac_f16_e32 v60, v82, v90
	v_fmac_f16_e32 v59, v83, v86
	v_fma_f16 v64, v48, v90, -v27
	v_mul_f16_sdwa v27, v107, v92 dst_sel:DWORD dst_unused:UNUSED_PAD src0_sel:DWORD src1_sel:WORD_1
	ds_read_u16 v90, v15 offset:6264
	v_fma_f16 v85, v42, v87, -v43
	v_fma_f16 v86, v44, v91, -v45
	v_mul_f16_sdwa v82, v44, v91 dst_sel:DWORD dst_unused:UNUSED_PAD src0_sel:DWORD src1_sel:WORD_1
	v_mul_f16_sdwa v42, v108, v93 dst_sel:DWORD dst_unused:UNUSED_PAD src0_sel:DWORD src1_sel:WORD_1
	v_fma_f16 v67, v34, v92, -v27
	s_waitcnt vmcnt(4) lgkmcnt(2)
	v_mul_f16_sdwa v34, v114, v94 dst_sel:DWORD dst_unused:UNUSED_PAD src0_sel:DWORD src1_sel:WORD_1
	v_mul_f16_sdwa v43, v78, v95 dst_sel:DWORD dst_unused:UNUSED_PAD src0_sel:DWORD src1_sel:WORD_1
	;; [unrolled: 1-line block ×3, first 2 shown]
	v_fmac_f16_e32 v81, v113, v87
	v_fma_f16 v87, v47, v93, -v42
	v_mul_f16_sdwa v27, v39, v94 dst_sel:DWORD dst_unused:UNUSED_PAD src0_sel:DWORD src1_sel:WORD_1
	v_mul_f16_sdwa v42, v37, v95 dst_sel:DWORD dst_unused:UNUSED_PAD src0_sel:DWORD src1_sel:WORD_1
	v_fma_f16 v34, v39, v94, -v34
	v_fma_f16 v45, v37, v95, -v43
	;; [unrolled: 1-line block ×3, first 2 shown]
	v_mul_f16_sdwa v44, v68, v97 dst_sel:DWORD dst_unused:UNUSED_PAD src0_sel:DWORD src1_sel:WORD_1
	v_mul_f16_sdwa v43, v40, v97 dst_sel:DWORD dst_unused:UNUSED_PAD src0_sel:DWORD src1_sel:WORD_1
	s_waitcnt vmcnt(3)
	v_mul_f16_sdwa v48, v66, v98 dst_sel:DWORD dst_unused:UNUSED_PAD src0_sel:DWORD src1_sel:WORD_1
	v_mul_f16_sdwa v37, v38, v98 dst_sel:DWORD dst_unused:UNUSED_PAD src0_sel:DWORD src1_sel:WORD_1
	;; [unrolled: 1-line block ×3, first 2 shown]
	v_fmac_f16_e32 v42, v78, v95
	v_fma_f16 v47, v40, v97, -v44
	v_fmac_f16_e32 v43, v68, v97
	v_fma_f16 v40, v38, v98, -v48
	v_fmac_f16_e32 v37, v66, v98
	v_mul_f16_sdwa v48, v105, v99 dst_sel:DWORD dst_unused:UNUSED_PAD src0_sel:DWORD src1_sel:WORD_1
	v_mul_f16_sdwa v66, v112, v100 dst_sel:DWORD dst_unused:UNUSED_PAD src0_sel:DWORD src1_sel:WORD_1
	;; [unrolled: 1-line block ×3, first 2 shown]
	s_waitcnt vmcnt(1)
	v_mul_f16_sdwa v78, v110, v103 dst_sel:DWORD dst_unused:UNUSED_PAD src0_sel:DWORD src1_sel:WORD_1
	v_fmac_f16_e32 v61, v107, v92
	ds_read_u16 v92, v16
	v_mul_f16_sdwa v44, v41, v99 dst_sel:DWORD dst_unused:UNUSED_PAD src0_sel:DWORD src1_sel:WORD_1
	v_mul_f16_sdwa v38, v49, v100 dst_sel:DWORD dst_unused:UNUSED_PAD src0_sel:DWORD src1_sel:WORD_1
	v_fma_f16 v48, v41, v99, -v48
	v_fma_f16 v41, v49, v100, -v66
	;; [unrolled: 1-line block ×3, first 2 shown]
	v_mul_f16_sdwa v68, v111, v102 dst_sel:DWORD dst_unused:UNUSED_PAD src0_sel:DWORD src1_sel:WORD_1
	v_mul_f16_sdwa v66, v54, v103 dst_sel:DWORD dst_unused:UNUSED_PAD src0_sel:DWORD src1_sel:WORD_1
	v_fma_f16 v78, v54, v103, -v78
	v_add_f16_e32 v54, v73, v74
	s_waitcnt vmcnt(0) lgkmcnt(1)
	v_mul_f16_sdwa v79, v90, v72 dst_sel:DWORD dst_unused:UNUSED_PAD src0_sel:DWORD src1_sel:WORD_1
	v_fmac_f16_e32 v82, v106, v91
	v_fmac_f16_e32 v83, v108, v93
	;; [unrolled: 1-line block ×3, first 2 shown]
	v_mul_f16_sdwa v91, v55, v102 dst_sel:DWORD dst_unused:UNUSED_PAD src0_sel:DWORD src1_sel:WORD_1
	v_fma_f16 v55, v55, v102, -v68
	v_mul_f16_sdwa v68, v35, v72 dst_sel:DWORD dst_unused:UNUSED_PAD src0_sel:DWORD src1_sel:WORD_1
	v_sub_f16_e32 v93, v70, v73
	v_fma_f16 v54, -0.5, v54, v33
	v_sub_f16_e32 v94, v63, v77
	v_sub_f16_e32 v95, v89, v74
	v_fma_f16 v79, v35, v72, -v79
	v_add_f16_e32 v35, v70, v89
	v_mul_f16_sdwa v36, v36, v96 dst_sel:DWORD dst_unused:UNUSED_PAD src0_sel:DWORD src1_sel:WORD_1
	v_fmac_f16_e32 v68, v90, v72
	v_fmamk_f16 v72, v94, 0x3b9c, v54
	v_sub_f16_e32 v90, v69, v71
	v_add_f16_e32 v93, v93, v95
	v_add_f16_e32 v95, v33, v70
	v_fmac_f16_e32 v33, -0.5, v35
	v_fmac_f16_e32 v54, 0xbb9c, v94
	v_fmac_f16_e32 v36, v104, v96
	;; [unrolled: 1-line block ×3, first 2 shown]
	v_sub_f16_e32 v35, v73, v70
	v_sub_f16_e32 v96, v74, v89
	v_fmamk_f16 v97, v90, 0xbb9c, v33
	v_fmac_f16_e32 v33, 0x3b9c, v90
	v_add_f16_e32 v95, v95, v73
	v_fmac_f16_e32 v54, 0xb8b4, v90
	v_add_f16_e32 v35, v35, v96
	v_fmac_f16_e32 v97, 0x38b4, v94
	v_fmac_f16_e32 v33, 0xb8b4, v94
	v_add_f16_e32 v90, v95, v74
	v_fmac_f16_e32 v72, 0x34f2, v93
	;; [unrolled: 3-line block ×3, first 2 shown]
	v_fmac_f16_e32 v33, 0x34f2, v35
	v_add_f16_e32 v35, v90, v89
	v_add_f16_e32 v90, v88, v63
	v_sub_f16_e32 v70, v70, v89
	v_sub_f16_e32 v89, v63, v69
	;; [unrolled: 1-line block ×3, first 2 shown]
	v_fma_f16 v93, -0.5, v93, v88
	v_sub_f16_e32 v73, v73, v74
	v_add_f16_e32 v74, v63, v77
	v_add_f16_e32 v90, v90, v69
	v_add_f16_e32 v89, v89, v94
	v_fmamk_f16 v94, v70, 0xbb9c, v93
	v_fmac_f16_e32 v93, 0x3b9c, v70
	v_fmac_f16_e32 v88, -0.5, v74
	v_sub_f16_e32 v63, v69, v63
	v_sub_f16_e32 v69, v71, v77
	v_fmac_f16_e32 v91, v111, v102
	v_add_f16_e32 v90, v90, v71
	v_fmac_f16_e32 v94, 0xb8b4, v73
	v_fmac_f16_e32 v93, 0x38b4, v73
	v_fmamk_f16 v95, v73, 0x3b9c, v88
	v_fmac_f16_e32 v88, 0xbb9c, v73
	v_add_f16_e32 v71, v62, v76
	v_add_f16_e32 v63, v63, v69
	v_sub_f16_e32 v69, v57, v62
	v_sub_f16_e32 v73, v55, v76
	v_fmac_f16_e32 v95, 0xb8b4, v70
	v_fma_f16 v71, -0.5, v71, v53
	v_sub_f16_e32 v74, v56, v91
	v_fmac_f16_e32 v88, 0x38b4, v70
	v_add_f16_e32 v70, v57, v55
	v_add_f16_e32 v69, v69, v73
	;; [unrolled: 1-line block ×4, first 2 shown]
	v_fmac_f16_e32 v94, 0x34f2, v89
	v_fmac_f16_e32 v93, 0x34f2, v89
	v_fmamk_f16 v77, v74, 0x3b9c, v71
	v_sub_f16_e32 v89, v58, v75
	v_fmac_f16_e32 v53, -0.5, v70
	v_fmac_f16_e32 v71, 0xbb9c, v74
	v_add_f16_e32 v73, v73, v62
	v_sub_f16_e32 v70, v62, v57
	v_sub_f16_e32 v96, v76, v55
	v_fmac_f16_e32 v77, 0x38b4, v89
	v_fmamk_f16 v98, v89, 0xbb9c, v53
	v_fmac_f16_e32 v53, 0x3b9c, v89
	v_fmac_f16_e32 v71, 0xb8b4, v89
	;; [unrolled: 1-line block ×4, first 2 shown]
	v_add_f16_e32 v63, v73, v76
	v_add_f16_e32 v70, v70, v96
	v_fmac_f16_e32 v98, 0x38b4, v74
	v_fmac_f16_e32 v53, 0xb8b4, v74
	;; [unrolled: 1-line block ×4, first 2 shown]
	v_add_f16_e32 v63, v63, v55
	v_sub_f16_e32 v55, v57, v55
	v_add_f16_e32 v57, v58, v75
	v_add_f16_e32 v69, v56, v91
	v_fmac_f16_e32 v98, 0x34f2, v70
	v_fmac_f16_e32 v53, 0x34f2, v70
	v_sub_f16_e32 v62, v62, v76
	v_add_f16_e32 v70, v52, v56
	v_fma_f16 v57, -0.5, v57, v52
	v_fmac_f16_e32 v52, -0.5, v69
	v_sub_f16_e32 v73, v56, v58
	v_sub_f16_e32 v74, v91, v75
	v_add_f16_e32 v69, v70, v58
	v_sub_f16_e32 v56, v58, v56
	v_fmamk_f16 v58, v55, 0xbb9c, v57
	v_sub_f16_e32 v70, v75, v91
	v_fmamk_f16 v76, v62, 0x3b9c, v52
	v_fmac_f16_e32 v52, 0xbb9c, v62
	v_add_f16_e32 v73, v73, v74
	v_fmac_f16_e32 v58, 0xb8b4, v62
	v_add_f16_e32 v56, v56, v70
	v_fmac_f16_e32 v57, 0x3b9c, v55
	v_fmac_f16_e32 v52, 0x38b4, v55
	v_add_f16_e32 v69, v69, v75
	v_fmac_f16_e32 v76, 0xb8b4, v55
	v_fmac_f16_e32 v58, 0x34f2, v73
	;; [unrolled: 1-line block ×4, first 2 shown]
	v_add_f16_e32 v89, v69, v91
	v_fmac_f16_e32 v76, 0x34f2, v56
	v_mul_f16_e32 v55, 0x38b4, v58
	v_mul_f16_e32 v62, 0xb8b4, v77
	v_fmac_f16_e32 v57, 0x34f2, v73
	v_mul_f16_e32 v56, 0x34f2, v53
	v_mul_f16_e32 v69, 0x34f2, v52
	;; [unrolled: 1-line block ×3, first 2 shown]
	v_fmac_f16_e32 v55, 0x3a79, v77
	v_fmac_f16_e32 v62, 0x3a79, v58
	v_mul_f16_e32 v58, 0xbb9c, v98
	v_mul_f16_e32 v74, 0x3a79, v57
	v_fma_f16 v52, v52, 0x3b9c, -v56
	v_fma_f16 v91, v53, 0xbb9c, -v69
	;; [unrolled: 1-line block ×3, first 2 shown]
	v_mul_f16_e32 v70, 0x3b9c, v76
	v_fmac_f16_e32 v58, 0x34f2, v76
	v_fma_f16 v96, v71, 0xb8b4, -v74
	v_add_f16_e32 v76, v35, v63
	v_sub_f16_e32 v35, v35, v63
	v_add_f16_e32 v77, v72, v55
	v_sub_f16_e32 v69, v72, v55
	;; [unrolled: 2-line block ×7, first 2 shown]
	v_sub_f16_e32 v89, v87, v86
	v_add_f16_e32 v94, v84, v87
	v_fmac_f16_e32 v70, 0x34f2, v98
	v_add_f16_e32 v56, v95, v58
	v_sub_f16_e32 v53, v95, v58
	v_add_f16_e32 v57, v88, v91
	v_fma_f16 v90, -0.5, v62, v32
	v_sub_f16_e32 v62, v80, v83
	v_sub_f16_e32 v58, v88, v91
	v_add_f16_e32 v88, v63, v89
	v_add_f16_e32 v63, v32, v84
	v_sub_f16_e32 v91, v81, v82
	v_fmac_f16_e32 v32, -0.5, v94
	v_add_f16_e32 v73, v97, v70
	v_sub_f16_e32 v70, v97, v70
	v_fmamk_f16 v89, v62, 0x3b9c, v90
	v_fmac_f16_e32 v90, 0xbb9c, v62
	v_sub_f16_e32 v94, v85, v84
	v_sub_f16_e32 v95, v86, v87
	v_fmamk_f16 v97, v91, 0xbb9c, v32
	v_fmac_f16_e32 v32, 0x3b9c, v91
	v_fmac_f16_e32 v89, 0x38b4, v91
	;; [unrolled: 1-line block ×3, first 2 shown]
	v_add_f16_e32 v91, v94, v95
	v_add_f16_e32 v94, v63, v85
	v_fmac_f16_e32 v97, 0x38b4, v62
	v_fmac_f16_e32 v32, 0xb8b4, v62
	v_add_f16_e32 v63, v93, v96
	v_sub_f16_e32 v62, v93, v96
	v_add_f16_e32 v93, v94, v86
	v_fmac_f16_e32 v97, 0x34f2, v91
	v_fmac_f16_e32 v32, 0x34f2, v91
	s_waitcnt lgkmcnt(0)
	v_add_f16_e32 v91, v92, v80
	v_fmac_f16_e32 v89, 0x34f2, v88
	v_fmac_f16_e32 v90, 0x34f2, v88
	v_add_f16_e32 v88, v93, v87
	v_add_f16_e32 v93, v81, v82
	;; [unrolled: 1-line block ×3, first 2 shown]
	v_sub_f16_e32 v84, v84, v87
	v_sub_f16_e32 v87, v80, v81
	;; [unrolled: 1-line block ×3, first 2 shown]
	v_fma_f16 v93, -0.5, v93, v92
	v_sub_f16_e32 v85, v85, v86
	v_add_f16_e32 v86, v80, v83
	v_add_f16_e32 v91, v91, v82
	v_sub_f16_e32 v80, v81, v80
	v_sub_f16_e32 v82, v82, v83
	v_add_f16_e32 v87, v87, v94
	v_fmamk_f16 v94, v84, 0xbb9c, v93
	v_fmac_f16_e32 v93, 0x3b9c, v84
	v_fmac_f16_e32 v92, -0.5, v86
	v_add_f16_e32 v80, v80, v82
	v_sub_f16_e32 v82, v65, v64
	v_sub_f16_e32 v86, v78, v67
	v_fmac_f16_e32 v66, v110, v103
	v_add_f16_e32 v81, v91, v83
	v_fmac_f16_e32 v94, 0xb8b4, v85
	v_fmac_f16_e32 v93, 0x38b4, v85
	v_fmamk_f16 v83, v85, 0x3b9c, v92
	v_fmac_f16_e32 v92, 0xbb9c, v85
	v_add_f16_e32 v85, v64, v67
	v_add_f16_e32 v82, v82, v86
	;; [unrolled: 1-line block ×3, first 2 shown]
	v_fmac_f16_e32 v94, 0x34f2, v87
	v_fmac_f16_e32 v93, 0x34f2, v87
	;; [unrolled: 1-line block ×3, first 2 shown]
	v_fma_f16 v85, -0.5, v85, v51
	v_sub_f16_e32 v87, v59, v66
	v_fmac_f16_e32 v92, 0x38b4, v84
	v_add_f16_e32 v84, v65, v78
	v_add_f16_e32 v86, v86, v64
	v_sub_f16_e32 v95, v60, v61
	v_fmamk_f16 v91, v87, 0x3b9c, v85
	v_fmac_f16_e32 v85, 0xbb9c, v87
	v_fmac_f16_e32 v51, -0.5, v84
	v_fmac_f16_e32 v83, 0x34f2, v80
	v_fmac_f16_e32 v92, 0x34f2, v80
	v_add_f16_e32 v80, v86, v67
	v_sub_f16_e32 v84, v64, v65
	v_sub_f16_e32 v96, v67, v78
	v_fmac_f16_e32 v91, 0x38b4, v95
	v_fmamk_f16 v98, v95, 0xbb9c, v51
	v_fmac_f16_e32 v51, 0x3b9c, v95
	v_fmac_f16_e32 v85, 0xb8b4, v95
	v_add_f16_e32 v80, v80, v78
	v_sub_f16_e32 v65, v65, v78
	v_add_f16_e32 v78, v60, v61
	v_sub_f16_e32 v64, v64, v67
	v_add_f16_e32 v67, v59, v66
	v_add_f16_e32 v84, v84, v96
	v_fmac_f16_e32 v98, 0x38b4, v87
	v_fmac_f16_e32 v51, 0xb8b4, v87
	;; [unrolled: 1-line block ×4, first 2 shown]
	v_add_f16_e32 v82, v50, v59
	v_fma_f16 v78, -0.5, v78, v50
	v_fmac_f16_e32 v50, -0.5, v67
	v_fmac_f16_e32 v98, 0x34f2, v84
	v_fmac_f16_e32 v51, 0x34f2, v84
	v_sub_f16_e32 v84, v59, v60
	v_sub_f16_e32 v86, v66, v61
	v_add_f16_e32 v67, v82, v60
	v_sub_f16_e32 v59, v60, v59
	v_fmamk_f16 v60, v65, 0xbb9c, v78
	v_sub_f16_e32 v82, v61, v66
	v_fmamk_f16 v87, v64, 0x3b9c, v50
	v_fmac_f16_e32 v50, 0xbb9c, v64
	v_add_f16_e32 v84, v84, v86
	v_fmac_f16_e32 v60, 0xb8b4, v64
	v_add_f16_e32 v59, v59, v82
	v_fmac_f16_e32 v78, 0x3b9c, v65
	v_fmac_f16_e32 v50, 0x38b4, v65
	;; [unrolled: 1-line block ×4, first 2 shown]
	v_mul_f16_e32 v65, 0xb8b4, v91
	v_fmac_f16_e32 v78, 0x38b4, v64
	v_fmac_f16_e32 v50, 0x34f2, v59
	v_add_f16_e32 v61, v67, v61
	v_fmac_f16_e32 v87, 0x34f2, v59
	v_mul_f16_e32 v64, 0x38b4, v60
	v_fmac_f16_e32 v78, 0x34f2, v84
	v_fmac_f16_e32 v65, 0x3a79, v60
	v_mul_f16_e32 v59, 0xbb9c, v98
	v_mul_f16_e32 v60, 0x34f2, v51
	;; [unrolled: 1-line block ×4, first 2 shown]
	v_mul_f16_sdwa v46, v46, v101 dst_sel:DWORD dst_unused:UNUSED_PAD src0_sel:DWORD src1_sel:WORD_1
	v_add_f16_e32 v61, v61, v66
	v_fmac_f16_e32 v64, 0x3a79, v91
	v_mul_f16_e32 v84, 0x3a79, v78
	v_fmac_f16_e32 v59, 0x34f2, v87
	v_fma_f16 v50, v50, 0x3b9c, -v60
	v_fma_f16 v51, v51, 0xbb9c, -v67
	;; [unrolled: 1-line block ×3, first 2 shown]
	v_fmac_f16_e32 v44, v105, v99
	v_fmac_f16_e32 v46, v109, v101
	v_mul_f16_e32 v66, 0x3b9c, v87
	v_fma_f16 v82, v85, 0xb8b4, -v84
	v_add_f16_e32 v84, v88, v80
	v_sub_f16_e32 v85, v88, v80
	v_add_f16_e32 v86, v89, v64
	v_sub_f16_e32 v64, v89, v64
	;; [unrolled: 2-line block ×6, first 2 shown]
	v_add_f16_e32 v94, v83, v59
	v_add_f16_e32 v61, v47, v48
	v_sub_f16_e32 v78, v83, v59
	v_add_f16_e32 v80, v92, v51
	v_sub_f16_e32 v59, v45, v47
	v_sub_f16_e32 v65, v49, v48
	;; [unrolled: 1-line block ×3, first 2 shown]
	v_add_f16_e32 v51, v45, v49
	v_fmac_f16_e32 v66, 0x34f2, v98
	v_fma_f16 v61, -0.5, v61, v5
	v_sub_f16_e32 v83, v42, v46
	v_add_f16_e32 v59, v59, v65
	v_add_f16_e32 v65, v5, v45
	v_sub_f16_e32 v95, v43, v44
	v_fmac_f16_e32 v5, -0.5, v51
	v_add_f16_e32 v87, v97, v66
	v_sub_f16_e32 v66, v97, v66
	v_fmamk_f16 v92, v83, 0x3b9c, v61
	v_fmac_f16_e32 v61, 0xbb9c, v83
	v_sub_f16_e32 v51, v47, v45
	v_sub_f16_e32 v96, v48, v49
	v_fmamk_f16 v97, v95, 0xbb9c, v5
	v_fmac_f16_e32 v5, 0x3b9c, v95
	v_add_f16_e32 v65, v65, v47
	v_fmac_f16_e32 v92, 0x38b4, v95
	v_fmac_f16_e32 v61, 0xb8b4, v95
	v_add_f16_e32 v51, v51, v96
	v_fmac_f16_e32 v97, 0x38b4, v83
	;; [unrolled: 3-line block ×3, first 2 shown]
	v_fmac_f16_e32 v61, 0x34f2, v59
	v_fmac_f16_e32 v97, 0x34f2, v51
	;; [unrolled: 1-line block ×3, first 2 shown]
	v_add_f16_e32 v51, v65, v49
	v_add_f16_e32 v59, v26, v42
	;; [unrolled: 1-line block ×4, first 2 shown]
	v_sub_f16_e32 v82, v93, v82
	v_sub_f16_e32 v45, v45, v49
	;; [unrolled: 1-line block ×4, first 2 shown]
	v_add_f16_e32 v59, v59, v43
	v_fma_f16 v65, -0.5, v65, v26
	v_sub_f16_e32 v47, v47, v48
	v_add_f16_e32 v48, v42, v46
	v_add_f16_e32 v49, v49, v93
	;; [unrolled: 1-line block ×3, first 2 shown]
	v_fmamk_f16 v93, v45, 0xbb9c, v65
	v_fmac_f16_e32 v65, 0x3b9c, v45
	v_fmac_f16_e32 v26, -0.5, v48
	v_sub_f16_e32 v42, v43, v42
	v_add_f16_e32 v43, v59, v46
	v_fmac_f16_e32 v93, 0xb8b4, v47
	v_fmac_f16_e32 v65, 0x38b4, v47
	v_sub_f16_e32 v44, v44, v46
	v_fmamk_f16 v46, v47, 0x3b9c, v26
	v_fmac_f16_e32 v26, 0xbb9c, v47
	v_add_f16_e32 v47, v40, v41
	v_fmac_f16_e32 v38, v112, v100
	v_fmac_f16_e32 v93, 0x34f2, v49
	;; [unrolled: 1-line block ×3, first 2 shown]
	v_add_f16_e32 v42, v42, v44
	v_fmac_f16_e32 v46, 0xb8b4, v45
	v_sub_f16_e32 v44, v39, v40
	v_sub_f16_e32 v48, v79, v41
	v_fma_f16 v47, -0.5, v47, v34
	v_sub_f16_e32 v49, v36, v68
	v_fmac_f16_e32 v26, 0x38b4, v45
	v_add_f16_e32 v45, v39, v79
	v_add_f16_e32 v44, v44, v48
	;; [unrolled: 1-line block ×3, first 2 shown]
	v_fmamk_f16 v59, v49, 0x3b9c, v47
	v_sub_f16_e32 v95, v37, v38
	v_fmac_f16_e32 v34, -0.5, v45
	v_fmac_f16_e32 v47, 0xbb9c, v49
	v_sub_f16_e32 v45, v40, v39
	v_sub_f16_e32 v96, v41, v79
	v_fmac_f16_e32 v59, 0x38b4, v95
	v_fmamk_f16 v98, v95, 0xbb9c, v34
	v_fmac_f16_e32 v34, 0x3b9c, v95
	v_fmac_f16_e32 v47, 0xb8b4, v95
	v_add_f16_e32 v48, v48, v40
	v_add_f16_e32 v45, v45, v96
	v_fmac_f16_e32 v98, 0x38b4, v49
	v_fmac_f16_e32 v34, 0xb8b4, v49
	;; [unrolled: 1-line block ×4, first 2 shown]
	v_add_f16_e32 v42, v48, v41
	v_fmac_f16_e32 v59, 0x34f2, v44
	v_fmac_f16_e32 v47, 0x34f2, v44
	v_add_f16_e32 v44, v37, v38
	v_sub_f16_e32 v40, v40, v41
	v_add_f16_e32 v41, v36, v68
	v_fmac_f16_e32 v98, 0x34f2, v45
	v_fmac_f16_e32 v34, 0x34f2, v45
	v_add_f16_e32 v45, v27, v36
	v_fma_f16 v44, -0.5, v44, v27
	v_fmac_f16_e32 v27, -0.5, v41
	v_add_f16_e32 v42, v42, v79
	v_sub_f16_e32 v39, v39, v79
	v_sub_f16_e32 v48, v36, v37
	v_add_f16_e32 v41, v45, v37
	v_sub_f16_e32 v36, v37, v36
	v_sub_f16_e32 v45, v38, v68
	v_fmamk_f16 v79, v40, 0x3b9c, v27
	v_fmac_f16_e32 v27, 0xbb9c, v40
	v_sub_f16_e32 v49, v68, v38
	v_fmamk_f16 v37, v39, 0xbb9c, v44
	v_add_f16_e32 v36, v36, v45
	v_fmac_f16_e32 v79, 0xb8b4, v39
	v_fmac_f16_e32 v27, 0x38b4, v39
	v_add_f16_e32 v48, v48, v49
	v_fmac_f16_e32 v37, 0xb8b4, v40
	v_fmac_f16_e32 v44, 0x3b9c, v39
	;; [unrolled: 1-line block ×4, first 2 shown]
	v_add_f16_e32 v38, v41, v38
	v_fmac_f16_e32 v37, 0x34f2, v48
	v_fmac_f16_e32 v44, 0x38b4, v40
	v_mul_f16_e32 v40, 0xb8b4, v59
	v_mul_f16_e32 v45, 0x34f2, v27
	;; [unrolled: 1-line block ×4, first 2 shown]
	v_fmac_f16_e32 v44, 0x34f2, v48
	v_fmac_f16_e32 v40, 0x3a79, v37
	v_mul_f16_e32 v37, 0x34f2, v34
	v_fma_f16 v34, v34, 0xbb9c, -v45
	v_add_f16_e32 v45, v51, v42
	v_sub_f16_e32 v42, v51, v42
	v_mov_b32_e32 v51, 0xb4
	v_fmac_f16_e32 v41, 0x34f2, v98
	v_mul_f16_e32 v48, 0x3a79, v47
	v_fma_f16 v27, v27, 0x3b9c, -v37
	v_mul_f16_e32 v49, 0x3a79, v44
	v_mul_u32_u24_sdwa v6, v6, v51 dst_sel:DWORD dst_unused:UNUSED_PAD src0_sel:WORD_0 src1_sel:DWORD
	v_fmac_f16_e32 v39, 0x3a79, v59
	v_fma_f16 v37, v44, 0x38b4, -v48
	v_add_f16_e32 v48, v97, v41
	v_sub_f16_e32 v41, v97, v41
	v_add_f16_e32 v97, v26, v34
	v_sub_f16_e32 v34, v26, v34
	v_add3_u32 v6, 0, v6, v25
	v_mul_u32_u24_sdwa v25, v28, v51 dst_sel:DWORD dst_unused:UNUSED_PAD src0_sel:WORD_0 src1_sel:DWORD
	v_lshlrev_b32_sdwa v26, v23, v29 dst_sel:DWORD dst_unused:UNUSED_PAD src0_sel:DWORD src1_sel:BYTE_0
	v_fma_f16 v44, v47, 0xb8b4, -v49
	v_add_f16_e32 v49, v5, v27
	v_sub_f16_e32 v5, v5, v27
	v_mul_f16_e32 v36, 0xbb9c, v98
	v_add3_u32 v28, 0, v25, v26
	v_mul_u32_u24_e32 v25, 0xb4, v30
	v_lshlrev_b32_sdwa v26, v23, v31 dst_sel:DWORD dst_unused:UNUSED_PAD src0_sel:DWORD src1_sel:WORD_0
	v_add_f16_e32 v47, v92, v39
	v_sub_f16_e32 v39, v92, v39
	v_add_f16_e32 v27, v61, v37
	v_sub_f16_e32 v37, v61, v37
	v_add3_u32 v31, 0, v25, v26
	s_barrier
	buffer_gl0_inv
	ds_write_b16 v6, v76
	ds_write_b16 v6, v77 offset:18
	ds_write_b16 v6, v73 offset:36
	ds_write_b16 v6, v74 offset:54
	ds_write_b16 v6, v75 offset:72
	ds_write_b16 v6, v35 offset:90
	ds_write_b16 v6, v69 offset:108
	ds_write_b16 v6, v70 offset:126
	ds_write_b16 v6, v71 offset:144
	ds_write_b16 v6, v72 offset:162
	ds_write_b16 v28, v84
	ds_write_b16 v28, v86 offset:18
	ds_write_b16 v28, v87 offset:36
	ds_write_b16 v28, v88 offset:54
	ds_write_b16 v28, v89 offset:72
	ds_write_b16 v28, v85 offset:90
	ds_write_b16 v28, v64 offset:108
	ds_write_b16 v28, v66 offset:126
	ds_write_b16 v28, v50 offset:144
	ds_write_b16 v28, v60 offset:162
	;; [unrolled: 10-line block ×3, first 2 shown]
	v_add_nc_u32_e32 v5, 0xffffffa6, v7
	v_add_f16_e32 v38, v38, v68
	v_fmac_f16_e32 v36, 0x34f2, v79
	v_add_f16_e32 v95, v93, v40
	v_sub_f16_e32 v93, v93, v40
	v_cndmask_b32_e64 v26, v5, v7, s0
	v_add_f16_e32 v79, v43, v38
	v_sub_f16_e32 v92, v43, v38
	v_add_f16_e32 v96, v46, v36
	v_sub_f16_e32 v36, v46, v36
	v_add_f16_e32 v98, v65, v44
	v_sub_f16_e32 v99, v65, v44
	s_waitcnt lgkmcnt(0)
	s_barrier
	buffer_gl0_inv
	ds_read_u16 v51, v15 offset:2592
	ds_read_u16 v27, v20
	ds_read_u16 v37, v15
	ds_read_u16 v65, v15 offset:1296
	ds_read_u16 v61, v15 offset:1512
	;; [unrolled: 1-line block ×11, first 2 shown]
	ds_read_u16 v85, v22
	ds_read_u16 v25, v21
	ds_read_u16 v68, v15 offset:2376
	ds_read_u16 v86, v15 offset:2160
	;; [unrolled: 1-line block ×11, first 2 shown]
	ds_read_u16 v30, v14
	ds_read_u16 v35, v16
	ds_read_u16 v39, v15 offset:6264
	s_waitcnt lgkmcnt(0)
	s_barrier
	buffer_gl0_inv
	ds_write_b16 v6, v54
	ds_write_b16 v6, v55 offset:18
	ds_write_b16 v6, v56 offset:36
	;; [unrolled: 1-line block ×9, first 2 shown]
	ds_write_b16 v28, v90
	ds_write_b16 v28, v91 offset:18
	ds_write_b16 v28, v94 offset:36
	v_mul_i32_i24_e32 v5, 5, v26
	v_mov_b32_e32 v6, 0
	ds_write_b16 v28, v80 offset:54
	ds_write_b16 v28, v83 offset:72
	;; [unrolled: 1-line block ×7, first 2 shown]
	ds_write_b16 v31, v79
	ds_write_b16 v31, v95 offset:18
	ds_write_b16 v31, v96 offset:36
	;; [unrolled: 1-line block ×8, first 2 shown]
	v_lshlrev_b64 v[28:29], 2, v[5:6]
	v_mul_lo_u16 v5, 0xb7, v24
	v_mov_b32_e32 v36, 5
	v_mov_b32_e32 v32, 0x2d83
	ds_write_b16 v31, v99 offset:162
	s_waitcnt lgkmcnt(0)
	v_lshrrev_b16 v5, 14, v5
	v_add_co_u32 v56, s0, s12, v28
	v_add_co_ci_u32_e64 v57, s0, s13, v29, s0
	v_mul_lo_u16 v24, 0x5a, v5
	v_mul_u32_u24_sdwa v29, v9, v32 dst_sel:DWORD dst_unused:UNUSED_PAD src0_sel:WORD_0 src1_sel:DWORD
	s_barrier
	buffer_gl0_inv
	global_load_dwordx4 v[52:55], v[56:57], off offset:348
	v_sub_nc_u16 v24, v8, v24
	v_mul_u32_u24_sdwa v31, v10, v32 dst_sel:DWORD dst_unused:UNUSED_PAD src0_sel:WORD_0 src1_sel:DWORD
	v_mul_u32_u24_sdwa v32, v11, v32 dst_sel:DWORD dst_unused:UNUSED_PAD src0_sel:WORD_0 src1_sel:DWORD
	v_cmp_lt_u32_e64 s0, 0x59, v7
	v_lshlrev_b32_e32 v26, 1, v26
	v_mul_u32_u24_sdwa v28, v24, v36 dst_sel:DWORD dst_unused:UNUSED_PAD src0_sel:BYTE_0 src1_sel:DWORD
	v_lshrrev_b32_e32 v31, 20, v31
	v_lshrrev_b32_e32 v32, 20, v32
	v_lshlrev_b32_sdwa v24, v23, v24 dst_sel:DWORD dst_unused:UNUSED_PAD src0_sel:DWORD src1_sel:BYTE_0
	v_lshlrev_b32_e32 v58, 2, v28
	v_lshrrev_b32_e32 v28, 20, v29
	v_mul_lo_u16 v63, 0x5a, v32
	global_load_dwordx4 v[69:72], v58, s[12:13] offset:348
	v_mul_lo_u16 v29, 0x5a, v28
	v_sub_nc_u16 v29, v9, v29
	v_mul_u32_u24_sdwa v33, v29, v36 dst_sel:DWORD dst_unused:UNUSED_PAD src0_sel:WORD_0 src1_sel:DWORD
	v_lshlrev_b32_e32 v62, 2, v33
	v_mul_lo_u16 v33, 0x5a, v31
	global_load_dwordx4 v[73:76], v62, s[12:13] offset:348
	v_sub_nc_u16 v34, v10, v33
	v_mul_u32_u24_sdwa v33, v34, v36 dst_sel:DWORD dst_unused:UNUSED_PAD src0_sel:WORD_0 src1_sel:DWORD
	v_lshlrev_b32_e32 v67, 2, v33
	v_sub_nc_u16 v33, v11, v63
	global_load_dwordx4 v[77:80], v67, s[12:13] offset:348
	v_mul_u32_u24_sdwa v36, v33, v36 dst_sel:DWORD dst_unused:UNUSED_PAD src0_sel:WORD_0 src1_sel:DWORD
	v_lshlrev_b32_e32 v36, 2, v36
	s_clause 0x5
	global_load_dwordx4 v[81:84], v36, s[12:13] offset:348
	global_load_dword v57, v[56:57], off offset:364
	global_load_dword v58, v58, s[12:13] offset:364
	global_load_dword v62, v62, s[12:13] offset:364
	;; [unrolled: 1-line block ×4, first 2 shown]
	ds_read_u16 v56, v22
	ds_read_u16 v89, v15 offset:2160
	ds_read_u16 v90, v15 offset:3240
	;; [unrolled: 1-line block ×8, first 2 shown]
	ds_read_u16 v36, v21
	ds_read_u16 v98, v15 offset:1944
	ds_read_u16 v99, v15 offset:1296
	;; [unrolled: 1-line block ×4, first 2 shown]
	s_waitcnt vmcnt(9) lgkmcnt(13)
	v_mul_f16_sdwa v97, v56, v52 dst_sel:DWORD dst_unused:UNUSED_PAD src0_sel:DWORD src1_sel:WORD_1
	v_mul_f16_sdwa v100, v85, v52 dst_sel:DWORD dst_unused:UNUSED_PAD src0_sel:DWORD src1_sel:WORD_1
	s_waitcnt lgkmcnt(12)
	v_mul_f16_sdwa v101, v89, v53 dst_sel:DWORD dst_unused:UNUSED_PAD src0_sel:DWORD src1_sel:WORD_1
	v_mul_f16_sdwa v102, v86, v53 dst_sel:DWORD dst_unused:UNUSED_PAD src0_sel:DWORD src1_sel:WORD_1
	s_waitcnt lgkmcnt(11)
	v_mul_f16_sdwa v105, v90, v54 dst_sel:DWORD dst_unused:UNUSED_PAD src0_sel:DWORD src1_sel:WORD_1
	v_fma_f16 v85, v85, v52, -v97
	v_fmac_f16_e32 v100, v56, v52
	v_fma_f16 v52, v86, v53, -v101
	v_fmac_f16_e32 v102, v89, v53
	v_mul_f16_sdwa v53, v88, v54 dst_sel:DWORD dst_unused:UNUSED_PAD src0_sel:DWORD src1_sel:WORD_1
	v_fma_f16 v86, v88, v54, -v105
	ds_read_u16 v88, v15 offset:4536
	s_waitcnt lgkmcnt(11)
	v_mul_f16_sdwa v56, v91, v55 dst_sel:DWORD dst_unused:UNUSED_PAD src0_sel:DWORD src1_sel:WORD_1
	v_mul_f16_sdwa v89, v87, v55 dst_sel:DWORD dst_unused:UNUSED_PAD src0_sel:DWORD src1_sel:WORD_1
	v_fmac_f16_e32 v53, v90, v54
	s_waitcnt vmcnt(8) lgkmcnt(3)
	v_mul_f16_sdwa v97, v99, v69 dst_sel:DWORD dst_unused:UNUSED_PAD src0_sel:DWORD src1_sel:WORD_1
	v_fma_f16 v54, v87, v55, -v56
	ds_read_u16 v56, v15 offset:1512
	ds_read_u16 v87, v15 offset:1728
	ds_read_u16 v90, v15
	v_mul_f16_sdwa v101, v65, v69 dst_sel:DWORD dst_unused:UNUSED_PAD src0_sel:DWORD src1_sel:WORD_1
	v_mul_f16_sdwa v105, v92, v70 dst_sel:DWORD dst_unused:UNUSED_PAD src0_sel:DWORD src1_sel:WORD_1
	v_fmac_f16_e32 v89, v91, v55
	v_mul_f16_sdwa v55, v94, v71 dst_sel:DWORD dst_unused:UNUSED_PAD src0_sel:DWORD src1_sel:WORD_1
	v_mul_f16_sdwa v91, v68, v70 dst_sel:DWORD dst_unused:UNUSED_PAD src0_sel:DWORD src1_sel:WORD_1
	v_fma_f16 v65, v65, v69, -v97
	v_fmac_f16_e32 v101, v99, v69
	v_fma_f16 v68, v68, v70, -v105
	v_mul_f16_sdwa v69, v66, v71 dst_sel:DWORD dst_unused:UNUSED_PAD src0_sel:DWORD src1_sel:WORD_1
	ds_read_u16 v97, v15 offset:4752
	ds_read_u16 v99, v15 offset:4968
	;; [unrolled: 1-line block ×7, first 2 shown]
	v_fma_f16 v66, v66, v71, -v55
	ds_read_u16 v55, v15 offset:2808
	s_waitcnt lgkmcnt(11)
	v_mul_f16_sdwa v110, v88, v72 dst_sel:DWORD dst_unused:UNUSED_PAD src0_sel:DWORD src1_sel:WORD_1
	v_fmac_f16_e32 v91, v92, v70
	v_mul_f16_sdwa v70, v64, v72 dst_sel:DWORD dst_unused:UNUSED_PAD src0_sel:DWORD src1_sel:WORD_1
	v_fmac_f16_e32 v69, v94, v71
	v_fma_f16 v64, v64, v72, -v110
	s_waitcnt vmcnt(7) lgkmcnt(10)
	v_mul_f16_sdwa v71, v56, v73 dst_sel:DWORD dst_unused:UNUSED_PAD src0_sel:DWORD src1_sel:WORD_1
	v_fmac_f16_e32 v70, v88, v72
	v_mul_f16_sdwa v72, v61, v73 dst_sel:DWORD dst_unused:UNUSED_PAD src0_sel:DWORD src1_sel:WORD_1
	v_mul_f16_sdwa v88, v93, v74 dst_sel:DWORD dst_unused:UNUSED_PAD src0_sel:DWORD src1_sel:WORD_1
	;; [unrolled: 1-line block ×3, first 2 shown]
	v_fma_f16 v61, v61, v73, -v71
	v_mul_f16_sdwa v71, v95, v75 dst_sel:DWORD dst_unused:UNUSED_PAD src0_sel:DWORD src1_sel:WORD_1
	v_fmac_f16_e32 v72, v56, v73
	v_fma_f16 v73, v51, v74, -v88
	s_waitcnt lgkmcnt(7)
	v_mul_f16_sdwa v51, v97, v76 dst_sel:DWORD dst_unused:UNUSED_PAD src0_sel:DWORD src1_sel:WORD_1
	v_mul_f16_sdwa v88, v59, v75 dst_sel:DWORD dst_unused:UNUSED_PAD src0_sel:DWORD src1_sel:WORD_1
	v_mul_f16_sdwa v94, v60, v76 dst_sel:DWORD dst_unused:UNUSED_PAD src0_sel:DWORD src1_sel:WORD_1
	v_fmac_f16_e32 v92, v93, v74
	v_fma_f16 v59, v59, v75, -v71
	v_fma_f16 v60, v60, v76, -v51
	v_fmac_f16_e32 v88, v95, v75
	s_waitcnt vmcnt(6)
	v_mul_f16_sdwa v51, v87, v77 dst_sel:DWORD dst_unused:UNUSED_PAD src0_sel:DWORD src1_sel:WORD_1
	v_mul_f16_sdwa v71, v48, v77 dst_sel:DWORD dst_unused:UNUSED_PAD src0_sel:DWORD src1_sel:WORD_1
	s_waitcnt lgkmcnt(0)
	v_mul_f16_sdwa v56, v55, v78 dst_sel:DWORD dst_unused:UNUSED_PAD src0_sel:DWORD src1_sel:WORD_1
	v_mul_f16_sdwa v74, v47, v78 dst_sel:DWORD dst_unused:UNUSED_PAD src0_sel:DWORD src1_sel:WORD_1
	v_fmac_f16_e32 v94, v97, v76
	v_mul_f16_sdwa v75, v96, v79 dst_sel:DWORD dst_unused:UNUSED_PAD src0_sel:DWORD src1_sel:WORD_1
	v_fma_f16 v76, v48, v77, -v51
	v_fmac_f16_e32 v71, v87, v77
	v_fma_f16 v77, v47, v78, -v56
	v_fmac_f16_e32 v74, v55, v78
	v_mul_f16_sdwa v78, v44, v79 dst_sel:DWORD dst_unused:UNUSED_PAD src0_sel:DWORD src1_sel:WORD_1
	v_mul_f16_sdwa v47, v99, v80 dst_sel:DWORD dst_unused:UNUSED_PAD src0_sel:DWORD src1_sel:WORD_1
	s_waitcnt vmcnt(5)
	v_mul_f16_sdwa v51, v103, v83 dst_sel:DWORD dst_unused:UNUSED_PAD src0_sel:DWORD src1_sel:WORD_1
	v_mul_f16_sdwa v48, v98, v81 dst_sel:DWORD dst_unused:UNUSED_PAD src0_sel:DWORD src1_sel:WORD_1
	v_fma_f16 v75, v44, v79, -v75
	v_fmac_f16_e32 v78, v96, v79
	v_fma_f16 v79, v45, v80, -v47
	v_mul_f16_sdwa v47, v46, v83 dst_sel:DWORD dst_unused:UNUSED_PAD src0_sel:DWORD src1_sel:WORD_1
	v_fma_f16 v46, v46, v83, -v51
	ds_read_u16 v51, v15 offset:6264
	v_fma_f16 v44, v49, v81, -v48
	v_mul_f16_sdwa v48, v104, v82 dst_sel:DWORD dst_unused:UNUSED_PAD src0_sel:DWORD src1_sel:WORD_1
	v_mul_f16_sdwa v87, v45, v80 dst_sel:DWORD dst_unused:UNUSED_PAD src0_sel:DWORD src1_sel:WORD_1
	;; [unrolled: 1-line block ×4, first 2 shown]
	s_waitcnt vmcnt(4)
	v_mul_f16_sdwa v55, v109, v57 dst_sel:DWORD dst_unused:UNUSED_PAD src0_sel:DWORD src1_sel:WORD_1
	v_fma_f16 v56, v50, v82, -v48
	v_mul_f16_sdwa v50, v105, v84 dst_sel:DWORD dst_unused:UNUSED_PAD src0_sel:DWORD src1_sel:WORD_1
	v_fmac_f16_e32 v87, v99, v80
	v_fmac_f16_e32 v45, v98, v81
	v_mul_f16_sdwa v48, v43, v84 dst_sel:DWORD dst_unused:UNUSED_PAD src0_sel:DWORD src1_sel:WORD_1
	v_mul_f16_sdwa v80, v42, v57 dst_sel:DWORD dst_unused:UNUSED_PAD src0_sel:DWORD src1_sel:WORD_1
	s_waitcnt vmcnt(3)
	v_mul_f16_sdwa v81, v108, v58 dst_sel:DWORD dst_unused:UNUSED_PAD src0_sel:DWORD src1_sel:WORD_1
	v_fma_f16 v43, v43, v84, -v50
	v_fma_f16 v42, v42, v57, -v55
	s_waitcnt vmcnt(2)
	v_mul_f16_sdwa v50, v106, v62 dst_sel:DWORD dst_unused:UNUSED_PAD src0_sel:DWORD src1_sel:WORD_1
	s_waitcnt vmcnt(1)
	v_mul_f16_sdwa v55, v107, v63 dst_sel:DWORD dst_unused:UNUSED_PAD src0_sel:DWORD src1_sel:WORD_1
	v_fmac_f16_e32 v49, v104, v82
	v_fmac_f16_e32 v48, v105, v84
	;; [unrolled: 1-line block ×3, first 2 shown]
	v_fma_f16 v57, v41, v58, -v81
	v_mul_f16_sdwa v81, v40, v62 dst_sel:DWORD dst_unused:UNUSED_PAD src0_sel:DWORD src1_sel:WORD_1
	v_mul_f16_sdwa v82, v38, v63 dst_sel:DWORD dst_unused:UNUSED_PAD src0_sel:DWORD src1_sel:WORD_1
	v_fma_f16 v40, v40, v62, -v50
	s_waitcnt vmcnt(0) lgkmcnt(0)
	v_mul_f16_sdwa v50, v51, v67 dst_sel:DWORD dst_unused:UNUSED_PAD src0_sel:DWORD src1_sel:WORD_1
	v_mul_f16_sdwa v84, v39, v67 dst_sel:DWORD dst_unused:UNUSED_PAD src0_sel:DWORD src1_sel:WORD_1
	v_fma_f16 v38, v38, v63, -v55
	v_add_f16_e32 v55, v52, v54
	v_fmac_f16_e32 v82, v107, v63
	v_fma_f16 v39, v39, v67, -v50
	v_fmac_f16_e32 v84, v51, v67
	v_add_f16_e32 v50, v102, v89
	v_add_f16_e32 v51, v37, v52
	v_fmac_f16_e32 v37, -0.5, v55
	v_sub_f16_e32 v55, v102, v89
	v_add_f16_e32 v63, v90, v102
	v_fmac_f16_e32 v90, -0.5, v50
	v_add_f16_e32 v50, v51, v54
	v_sub_f16_e32 v51, v52, v54
	v_fmamk_f16 v52, v55, 0x3aee, v37
	v_add_f16_e32 v54, v53, v80
	v_fmac_f16_e32 v37, 0xbaee, v55
	v_add_f16_e32 v55, v86, v42
	v_mul_f16_sdwa v41, v41, v58 dst_sel:DWORD dst_unused:UNUSED_PAD src0_sel:DWORD src1_sel:WORD_1
	v_add_f16_e32 v67, v85, v86
	v_add_f16_e32 v93, v100, v53
	v_fmac_f16_e32 v100, -0.5, v54
	v_sub_f16_e32 v54, v86, v42
	v_fmac_f16_e32 v85, -0.5, v55
	v_sub_f16_e32 v53, v53, v80
	v_fmac_f16_e32 v47, v103, v83
	v_fmac_f16_e32 v41, v108, v58
	;; [unrolled: 1-line block ×3, first 2 shown]
	ds_read_u16 v58, v20
	ds_read_u16 v62, v14
	;; [unrolled: 1-line block ×3, first 2 shown]
	v_add_f16_e32 v55, v63, v89
	v_fmamk_f16 v63, v51, 0xbaee, v90
	v_fmac_f16_e32 v90, 0x3aee, v51
	v_fmamk_f16 v51, v54, 0xbaee, v100
	v_fmamk_f16 v86, v53, 0x3aee, v85
	v_fmac_f16_e32 v85, 0xbaee, v53
	v_fmac_f16_e32 v100, 0x3aee, v54
	v_add_f16_e32 v42, v67, v42
	v_mul_f16_e32 v53, 0x3aee, v51
	v_mul_f16_e32 v54, 0xbaee, v86
	v_mul_f16_e32 v67, -0.5, v85
	v_mul_f16_e32 v89, -0.5, v100
	v_add_f16_e32 v80, v93, v80
	v_fmac_f16_e32 v53, 0.5, v86
	v_fmac_f16_e32 v54, 0.5, v51
	v_fmac_f16_e32 v67, 0x3aee, v100
	v_fmac_f16_e32 v89, 0xbaee, v85
	v_add_f16_e32 v85, v50, v42
	v_sub_f16_e32 v42, v50, v42
	v_add_f16_e32 v86, v52, v53
	v_sub_f16_e32 v93, v52, v53
	;; [unrolled: 2-line block ×5, first 2 shown]
	v_add_f16_e32 v63, v68, v64
	v_add_f16_e32 v67, v91, v70
	;; [unrolled: 1-line block ×4, first 2 shown]
	v_sub_f16_e32 v54, v90, v89
	v_fmac_f16_e32 v35, -0.5, v63
	s_waitcnt lgkmcnt(0)
	v_add_f16_e32 v63, v83, v91
	v_sub_f16_e32 v89, v91, v70
	v_fmac_f16_e32 v83, -0.5, v67
	v_add_f16_e32 v67, v80, v64
	v_sub_f16_e32 v64, v68, v64
	v_add_f16_e32 v68, v66, v57
	v_fmamk_f16 v80, v89, 0x3aee, v35
	v_add_f16_e32 v90, v69, v41
	v_fmac_f16_e32 v35, 0xbaee, v89
	v_add_f16_e32 v89, v65, v66
	v_fmac_f16_e32 v65, -0.5, v68
	v_add_f16_e32 v68, v101, v69
	v_sub_f16_e32 v69, v69, v41
	v_fmac_f16_e32 v101, -0.5, v90
	v_sub_f16_e32 v66, v66, v57
	v_add_f16_e32 v63, v63, v70
	v_fmamk_f16 v70, v64, 0xbaee, v83
	v_fmamk_f16 v90, v69, 0x3aee, v65
	v_fmac_f16_e32 v65, 0xbaee, v69
	v_fmac_f16_e32 v83, 0x3aee, v64
	v_fmamk_f16 v64, v66, 0xbaee, v101
	v_fmac_f16_e32 v101, 0x3aee, v66
	v_add_f16_e32 v57, v89, v57
	v_mul_f16_e32 v89, -0.5, v65
	v_mul_f16_e32 v69, 0xbaee, v90
	v_mul_f16_e32 v66, 0x3aee, v64
	v_mul_f16_e32 v91, -0.5, v101
	v_add_f16_e32 v41, v68, v41
	v_fmac_f16_e32 v89, 0x3aee, v101
	v_fmac_f16_e32 v69, 0.5, v64
	v_fmac_f16_e32 v66, 0.5, v90
	v_fmac_f16_e32 v91, 0xbaee, v65
	v_add_f16_e32 v64, v67, v57
	v_sub_f16_e32 v57, v67, v57
	v_add_f16_e32 v67, v35, v89
	v_sub_f16_e32 v35, v35, v89
	;; [unrolled: 2-line block ×3, first 2 shown]
	v_add_f16_e32 v41, v73, v60
	v_add_f16_e32 v89, v92, v94
	;; [unrolled: 1-line block ×4, first 2 shown]
	v_sub_f16_e32 v66, v80, v66
	v_add_f16_e32 v80, v70, v69
	v_sub_f16_e32 v69, v70, v69
	v_add_f16_e32 v70, v83, v91
	v_sub_f16_e32 v83, v83, v91
	v_fmac_f16_e32 v30, -0.5, v41
	v_add_f16_e32 v41, v62, v92
	v_sub_f16_e32 v91, v92, v94
	v_fmac_f16_e32 v62, -0.5, v89
	v_add_f16_e32 v89, v90, v60
	v_sub_f16_e32 v60, v73, v60
	v_add_f16_e32 v73, v59, v40
	v_fmamk_f16 v90, v91, 0x3aee, v30
	v_add_f16_e32 v92, v88, v81
	v_fmac_f16_e32 v30, 0xbaee, v91
	v_add_f16_e32 v91, v61, v59
	v_fmac_f16_e32 v61, -0.5, v73
	v_add_f16_e32 v73, v72, v88
	v_sub_f16_e32 v88, v88, v81
	v_fmac_f16_e32 v72, -0.5, v92
	v_sub_f16_e32 v59, v59, v40
	v_add_f16_e32 v41, v41, v94
	v_fmamk_f16 v92, v60, 0xbaee, v62
	v_fmamk_f16 v94, v88, 0x3aee, v61
	v_fmac_f16_e32 v61, 0xbaee, v88
	v_fmac_f16_e32 v62, 0x3aee, v60
	v_fmamk_f16 v60, v59, 0xbaee, v72
	v_fmac_f16_e32 v72, 0x3aee, v59
	v_add_f16_e32 v40, v91, v40
	v_mul_f16_e32 v88, 0xbaee, v94
	v_mul_f16_e32 v91, -0.5, v61
	v_add_f16_e32 v73, v73, v81
	v_mul_f16_e32 v59, 0x3aee, v60
	v_mul_f16_e32 v96, -0.5, v72
	v_fmac_f16_e32 v88, 0.5, v60
	v_fmac_f16_e32 v91, 0x3aee, v72
	v_add_f16_e32 v60, v89, v40
	v_sub_f16_e32 v40, v89, v40
	v_add_f16_e32 v81, v41, v73
	v_sub_f16_e32 v73, v41, v73
	;; [unrolled: 2-line block ×4, first 2 shown]
	v_add_f16_e32 v41, v77, v79
	v_add_f16_e32 v91, v74, v87
	;; [unrolled: 1-line block ×3, first 2 shown]
	v_fmac_f16_e32 v59, 0.5, v94
	v_sub_f16_e32 v77, v77, v79
	v_fmac_f16_e32 v27, -0.5, v41
	v_add_f16_e32 v41, v58, v74
	v_sub_f16_e32 v74, v74, v87
	v_fmac_f16_e32 v58, -0.5, v91
	v_add_f16_e32 v91, v92, v79
	v_add_f16_e32 v79, v75, v38
	;; [unrolled: 1-line block ×3, first 2 shown]
	v_fmamk_f16 v92, v74, 0x3aee, v27
	v_fmac_f16_e32 v27, 0xbaee, v74
	v_add_f16_e32 v74, v76, v75
	v_fmac_f16_e32 v76, -0.5, v79
	v_add_f16_e32 v79, v71, v78
	v_fmac_f16_e32 v71, -0.5, v94
	v_sub_f16_e32 v75, v75, v38
	v_sub_f16_e32 v78, v78, v82
	v_add_f16_e32 v41, v41, v87
	v_fmamk_f16 v87, v77, 0xbaee, v58
	v_fmac_f16_e32 v58, 0x3aee, v77
	v_fmamk_f16 v77, v75, 0xbaee, v71
	v_fmamk_f16 v94, v78, 0x3aee, v76
	v_fmac_f16_e32 v76, 0xbaee, v78
	v_fmac_f16_e32 v96, 0xbaee, v61
	;; [unrolled: 1-line block ×3, first 2 shown]
	v_add_f16_e32 v38, v74, v38
	v_mul_f16_e32 v74, 0x3aee, v77
	v_mul_f16_e32 v78, -0.5, v76
	v_add_f16_e32 v61, v90, v59
	v_sub_f16_e32 v59, v90, v59
	v_add_f16_e32 v90, v62, v96
	v_sub_f16_e32 v62, v62, v96
	v_mul_f16_e32 v75, 0xbaee, v94
	v_mul_f16_e32 v96, -0.5, v71
	v_add_f16_e32 v79, v79, v82
	v_fmac_f16_e32 v74, 0.5, v94
	v_fmac_f16_e32 v78, 0x3aee, v71
	v_fmac_f16_e32 v75, 0.5, v77
	v_fmac_f16_e32 v96, 0xbaee, v76
	v_add_f16_e32 v71, v91, v38
	v_sub_f16_e32 v38, v91, v38
	v_add_f16_e32 v76, v92, v74
	v_sub_f16_e32 v74, v92, v74
	;; [unrolled: 2-line block ×4, first 2 shown]
	v_add_f16_e32 v41, v56, v43
	v_add_f16_e32 v91, v49, v48
	;; [unrolled: 1-line block ×5, first 2 shown]
	v_fmac_f16_e32 v25, -0.5, v41
	v_add_f16_e32 v41, v36, v49
	v_sub_f16_e32 v49, v49, v48
	v_fmac_f16_e32 v36, -0.5, v91
	v_add_f16_e32 v91, v92, v43
	v_sub_f16_e32 v43, v56, v43
	v_add_f16_e32 v56, v46, v39
	v_fmamk_f16 v92, v49, 0x3aee, v25
	v_fmac_f16_e32 v25, 0xbaee, v49
	v_add_f16_e32 v49, v44, v46
	v_sub_f16_e32 v46, v46, v39
	v_fmac_f16_e32 v44, -0.5, v56
	v_add_f16_e32 v56, v45, v47
	v_fmac_f16_e32 v45, -0.5, v94
	v_sub_f16_e32 v47, v47, v84
	v_add_f16_e32 v41, v41, v48
	v_fmamk_f16 v48, v43, 0xbaee, v36
	v_fmac_f16_e32 v36, 0x3aee, v43
	v_fmamk_f16 v43, v46, 0xbaee, v45
	v_fmamk_f16 v94, v47, 0x3aee, v44
	v_fmac_f16_e32 v44, 0xbaee, v47
	v_fmac_f16_e32 v45, 0x3aee, v46
	v_add_f16_e32 v39, v49, v39
	v_mul_f16_e32 v46, 0x3aee, v43
	v_add_f16_e32 v56, v56, v84
	v_mul_f16_e32 v49, -0.5, v44
	v_sub_f16_e32 v75, v87, v75
	v_add_f16_e32 v87, v58, v96
	v_sub_f16_e32 v58, v58, v96
	v_mul_f16_e32 v96, -0.5, v45
	v_fmac_f16_e32 v46, 0.5, v94
	v_fmac_f16_e32 v49, 0x3aee, v45
	v_add_f16_e32 v84, v41, v56
	v_sub_f16_e32 v56, v41, v56
	v_mov_b32_e32 v41, 0x438
	v_fmac_f16_e32 v96, 0xbaee, v44
	v_add_f16_e32 v44, v92, v46
	v_sub_f16_e32 v45, v92, v46
	v_add_f16_e32 v46, v25, v49
	v_sub_f16_e32 v25, v25, v49
	v_cndmask_b32_e64 v49, 0, 0x438, s0
	v_mul_u32_u24_sdwa v5, v5, v41 dst_sel:DWORD dst_unused:UNUSED_PAD src0_sel:WORD_0 src1_sel:DWORD
	v_mul_f16_e32 v47, 0xbaee, v94
	s_barrier
	v_add3_u32 v94, 0, v49, v26
	v_add3_u32 v5, 0, v5, v24
	v_mul_u32_u24_e32 v24, 0x438, v28
	v_lshlrev_b32_sdwa v26, v23, v29 dst_sel:DWORD dst_unused:UNUSED_PAD src0_sel:DWORD src1_sel:WORD_0
	buffer_gl0_inv
	ds_write_b16 v94, v85
	ds_write_b16 v94, v86 offset:180
	ds_write_b16 v94, v95 offset:360
	;; [unrolled: 1-line block ×5, first 2 shown]
	ds_write_b16 v5, v64
	ds_write_b16 v5, v65 offset:180
	ds_write_b16 v5, v67 offset:360
	;; [unrolled: 1-line block ×3, first 2 shown]
	v_add3_u32 v57, 0, v24, v26
	v_mul_u32_u24_e32 v24, 0x438, v31
	v_lshlrev_b32_sdwa v26, v23, v34 dst_sel:DWORD dst_unused:UNUSED_PAD src0_sel:DWORD src1_sel:WORD_0
	ds_write_b16 v5, v66 offset:720
	ds_write_b16 v5, v35 offset:900
	ds_write_b16 v57, v60
	ds_write_b16 v57, v61 offset:180
	ds_write_b16 v57, v72 offset:360
	;; [unrolled: 1-line block ×3, first 2 shown]
	v_lshlrev_b32_sdwa v23, v23, v33 dst_sel:DWORD dst_unused:UNUSED_PAD src0_sel:DWORD src1_sel:WORD_0
	v_add3_u32 v60, 0, v24, v26
	v_mul_u32_u24_e32 v24, 0x438, v32
	v_fmac_f16_e32 v47, 0.5, v43
	v_add_f16_e32 v43, v91, v39
	v_sub_f16_e32 v39, v91, v39
	ds_write_b16 v57, v59 offset:720
	ds_write_b16 v57, v30 offset:900
	ds_write_b16 v60, v71
	ds_write_b16 v60, v76 offset:180
	v_add3_u32 v59, 0, v24, v23
	v_add_f16_e32 v91, v48, v47
	v_sub_f16_e32 v92, v48, v47
	v_add_f16_e32 v97, v36, v96
	v_sub_f16_e32 v96, v36, v96
	ds_write_b16 v60, v77 offset:360
	ds_write_b16 v60, v38 offset:540
	;; [unrolled: 1-line block ×4, first 2 shown]
	ds_write_b16 v59, v43
	ds_write_b16 v59, v44 offset:180
	ds_write_b16 v59, v46 offset:360
	;; [unrolled: 1-line block ×5, first 2 shown]
	s_waitcnt lgkmcnt(0)
	s_barrier
	buffer_gl0_inv
	ds_read_u16 v34, v15 offset:2592
	ds_read_u16 v30, v20
	ds_read_u16 v20, v15
	ds_read_u16 v27, v15 offset:1296
	ds_read_u16 v35, v15 offset:1512
	;; [unrolled: 1-line block ×11, first 2 shown]
	ds_read_u16 v22, v22
	ds_read_u16 v39, v21
	ds_read_u16 v31, v15 offset:2376
	ds_read_u16 v25, v15 offset:2160
	;; [unrolled: 1-line block ×11, first 2 shown]
	ds_read_u16 v28, v14
	ds_read_u16 v26, v16
	ds_read_u16 v48, v15 offset:6264
	s_waitcnt lgkmcnt(0)
	s_barrier
	buffer_gl0_inv
	ds_write_b16 v94, v52
	ds_write_b16 v94, v53 offset:180
	ds_write_b16 v94, v55 offset:360
	ds_write_b16 v94, v50 offset:540
	ds_write_b16 v94, v51 offset:720
	ds_write_b16 v94, v54 offset:900
	ds_write_b16 v5, v68
	ds_write_b16 v5, v80 offset:180
	ds_write_b16 v5, v70 offset:360
	ds_write_b16 v5, v63 offset:540
	ds_write_b16 v5, v69 offset:720
	ds_write_b16 v5, v83 offset:900
	;; [unrolled: 6-line block ×5, first 2 shown]
	s_waitcnt lgkmcnt(0)
	s_barrier
	buffer_gl0_inv
	s_and_saveexec_b32 s0, vcc_lo
	s_cbranch_execz .LBB0_15
; %bb.14:
	v_mul_u32_u24_e32 v50, 5, v7
	v_mul_i32_i24_e32 v5, 5, v11
	v_mad_u64_u32 v[68:69], null, s4, v3, 0
	v_mul_lo_u32 v4, s4, v4
	v_lshlrev_b32_e32 v11, 2, v50
	v_lshlrev_b64 v[50:51], 2, v[5:6]
	v_lshlrev_b64 v[1:2], 2, v[1:2]
	v_add_co_u32 v5, s0, s12, v11
	v_add_co_u32 v50, vcc_lo, s12, v50
	v_add_co_ci_u32_e32 v51, vcc_lo, s13, v51, vcc_lo
	v_add_co_ci_u32_e64 v11, null, s13, 0, s0
	v_add_co_u32 v66, vcc_lo, 0x800, v5
	v_mul_i32_i24_e32 v5, 5, v10
	v_add_co_ci_u32_e32 v67, vcc_lo, 0, v11, vcc_lo
	v_add_co_u32 v58, vcc_lo, 0x800, v50
	v_lshlrev_b64 v[10:11], 2, v[5:6]
	v_add_co_ci_u32_e32 v59, vcc_lo, 0, v51, vcc_lo
	global_load_dwordx4 v[50:53], v[66:67], off offset:100
	v_add_co_u32 v5, vcc_lo, s12, v10
	v_add_co_ci_u32_e32 v11, vcc_lo, s13, v11, vcc_lo
	s_clause 0x1
	global_load_dwordx4 v[54:57], v[58:59], off offset:100
	global_load_dword v70, v[58:59], off offset:116
	v_add_co_u32 v10, vcc_lo, 0x800, v5
	v_add_co_ci_u32_e32 v11, vcc_lo, 0, v11, vcc_lo
	v_mul_i32_i24_e32 v5, 5, v9
	s_clause 0x1
	global_load_dwordx4 v[58:61], v[10:11], off offset:100
	global_load_dword v71, v[10:11], off offset:116
	v_lshlrev_b64 v[9:10], 2, v[5:6]
	v_add_co_u32 v5, vcc_lo, s12, v9
	v_add_co_ci_u32_e32 v10, vcc_lo, s13, v10, vcc_lo
	v_add_co_u32 v9, vcc_lo, 0x800, v5
	v_mul_i32_i24_e32 v5, 5, v8
	v_add_co_ci_u32_e32 v10, vcc_lo, 0, v10, vcc_lo
	s_clause 0x1
	global_load_dwordx4 v[62:65], v[9:10], off offset:100
	global_load_dword v72, v[9:10], off offset:116
	v_lshlrev_b64 v[5:6], 2, v[5:6]
	v_add_co_u32 v5, vcc_lo, s12, v5
	v_add_co_ci_u32_e32 v6, vcc_lo, s13, v6, vcc_lo
	v_add_co_u32 v5, vcc_lo, 0x800, v5
	v_add_co_ci_u32_e32 v6, vcc_lo, 0, v6, vcc_lo
	s_clause 0x1
	global_load_dwordx4 v[8:11], v[5:6], off offset:100
	global_load_dword v6, v[5:6], off offset:116
	v_sub_nc_u32_e32 v5, 0, v17
	v_sub_nc_u32_e32 v17, 0, v18
	;; [unrolled: 1-line block ×3, first 2 shown]
	v_mul_lo_u32 v19, s5, v3
	ds_read_u16 v3, v15 offset:6264
	ds_read_u16 v73, v15 offset:4320
	;; [unrolled: 1-line block ×12, first 2 shown]
	global_load_dword v66, v[66:67], off offset:116
	ds_read_u16 v67, v15 offset:6048
	ds_read_u16 v84, v15 offset:5832
	;; [unrolled: 1-line block ×8, first 2 shown]
	ds_read_u16 v14, v14
	ds_read_u16 v91, v16
	v_add_nc_u32_e32 v12, v12, v17
	v_add_nc_u32_e32 v0, v0, v5
	;; [unrolled: 1-line block ×3, first 2 shown]
	ds_read_u16 v13, v15 offset:1944
	ds_read_u16 v16, v15 offset:1728
	ds_read_u16 v17, v15 offset:1512
	ds_read_u16 v18, v15 offset:1296
	ds_read_u16 v92, v15
	v_add3_u32 v69, v69, v4, v19
	ds_read_u16 v4, v12
	ds_read_u16 v12, v0
	;; [unrolled: 1-line block ×3, first 2 shown]
	s_waitcnt vmcnt(9)
	v_lshrrev_b32_e32 v95, 16, v51
	s_waitcnt lgkmcnt(18)
	v_mul_f16_e32 v98, v51, v83
	v_lshrrev_b32_e32 v96, 16, v52
	v_lshrrev_b32_e32 v94, 16, v50
	;; [unrolled: 1-line block ×3, first 2 shown]
	v_mul_f16_e32 v83, v95, v83
	v_fmac_f16_e32 v98, v25, v95
	s_waitcnt vmcnt(8)
	v_lshrrev_b32_e32 v0, 16, v54
	v_lshrrev_b32_e32 v5, 16, v55
	;; [unrolled: 1-line block ×4, first 2 shown]
	v_mul_f16_e32 v99, v55, v79
	s_waitcnt lgkmcnt(13)
	v_mul_f16_e32 v100, v57, v87
	s_waitcnt vmcnt(7)
	v_lshrrev_b32_e32 v101, 16, v70
	v_mul_f16_e32 v102, v56, v74
	v_mul_f16_e32 v103, v70, v3
	s_waitcnt lgkmcnt(7)
	v_mul_f16_e32 v104, v54, v13
	v_mul_f16_e32 v79, v5, v79
	;; [unrolled: 1-line block ×3, first 2 shown]
	v_fmac_f16_e32 v99, v47, v5
	v_fmac_f16_e32 v100, v49, v19
	v_mul_f16_e32 v5, v0, v13
	v_mul_f16_e32 v13, v15, v74
	;; [unrolled: 1-line block ×3, first 2 shown]
	v_fmac_f16_e32 v102, v46, v15
	v_fmac_f16_e32 v103, v48, v101
	;; [unrolled: 1-line block ×3, first 2 shown]
	s_waitcnt vmcnt(6)
	v_lshrrev_b32_e32 v0, 16, v58
	v_lshrrev_b32_e32 v15, 16, v59
	;; [unrolled: 1-line block ×4, first 2 shown]
	v_mul_f16_e32 v101, v59, v80
	v_mul_f16_e32 v105, v61, v88
	s_waitcnt vmcnt(5)
	v_lshrrev_b32_e32 v106, 16, v71
	v_mul_f16_e32 v107, v60, v75
	v_mul_f16_e32 v108, v71, v67
	s_waitcnt lgkmcnt(6)
	v_mul_f16_e32 v109, v58, v16
	v_fma_f16 v47, v47, v55, -v79
	v_fma_f16 v49, v49, v57, -v87
	v_add_f16_e32 v55, v99, v100
	v_fma_f16 v5, v45, v54, -v5
	v_fma_f16 v13, v46, v56, -v13
	;; [unrolled: 1-line block ×3, first 2 shown]
	v_add_f16_e32 v46, v102, v103
	s_waitcnt lgkmcnt(2)
	v_add_f16_e32 v48, v99, v4
	v_add_f16_e32 v54, v104, v102
	v_sub_f16_e32 v56, v99, v100
	v_mul_f16_e32 v57, v15, v80
	v_mul_f16_e32 v70, v74, v88
	v_fmac_f16_e32 v101, v42, v15
	v_fmac_f16_e32 v105, v44, v74
	v_mul_f16_e32 v15, v0, v16
	v_mul_f16_e32 v16, v19, v75
	v_mul_f16_e32 v67, v106, v67
	v_fmac_f16_e32 v107, v41, v19
	v_fmac_f16_e32 v108, v43, v106
	;; [unrolled: 1-line block ×3, first 2 shown]
	s_waitcnt vmcnt(4)
	v_lshrrev_b32_e32 v0, 16, v62
	v_lshrrev_b32_e32 v19, 16, v63
	v_lshrrev_b32_e32 v74, 16, v64
	v_lshrrev_b32_e32 v75, 16, v65
	v_mul_f16_e32 v79, v63, v81
	v_mul_f16_e32 v80, v65, v89
	s_waitcnt vmcnt(3)
	v_lshrrev_b32_e32 v87, 16, v72
	v_mul_f16_e32 v88, v64, v76
	v_mul_f16_e32 v99, v72, v84
	v_sub_f16_e32 v45, v102, v103
	v_mul_f16_e32 v102, v62, v17
	v_sub_f16_e32 v106, v47, v49
	v_fma_f16 v55, -0.5, v55, v4
	v_add_f16_e32 v4, v13, v3
	v_sub_f16_e32 v110, v13, v3
	v_fma_f16 v46, -0.5, v46, v104
	v_add_f16_e32 v48, v100, v48
	v_add_f16_e32 v54, v54, v103
	;; [unrolled: 1-line block ×5, first 2 shown]
	v_fma_f16 v42, v42, v59, -v57
	v_fma_f16 v44, v44, v61, -v70
	v_add_f16_e32 v57, v101, v105
	v_fma_f16 v15, v40, v58, -v15
	v_fma_f16 v16, v41, v60, -v16
	;; [unrolled: 1-line block ×3, first 2 shown]
	v_add_f16_e32 v43, v107, v108
	s_waitcnt lgkmcnt(1)
	v_add_f16_e32 v58, v101, v12
	v_add_f16_e32 v59, v109, v107
	v_mul_f16_e32 v61, v19, v81
	v_mul_f16_e32 v67, v75, v89
	v_fmac_f16_e32 v79, v34, v19
	v_fmac_f16_e32 v80, v38, v75
	v_mul_f16_e32 v17, v0, v17
	v_mul_f16_e32 v19, v74, v76
	v_mul_f16_e32 v70, v87, v84
	v_fmac_f16_e32 v88, v36, v74
	v_fmac_f16_e32 v99, v37, v87
	s_waitcnt vmcnt(2)
	v_lshrrev_b32_e32 v71, 16, v8
	v_lshrrev_b32_e32 v75, 16, v10
	s_waitcnt vmcnt(1)
	v_lshrrev_b32_e32 v87, 16, v6
	v_sub_f16_e32 v41, v107, v108
	v_sub_f16_e32 v60, v101, v105
	v_fmac_f16_e32 v102, v35, v0
	v_lshrrev_b32_e32 v74, 16, v9
	v_lshrrev_b32_e32 v76, 16, v11
	v_mul_f16_e32 v81, v9, v82
	v_mul_f16_e32 v84, v11, v90
	;; [unrolled: 1-line block ×5, first 2 shown]
	v_fma_f16 v107, -0.5, v4, v5
	v_fmamk_f16 v111, v110, 0x3aee, v46
	v_sub_f16_e32 v0, v48, v54
	v_fma_f16 v100, -0.5, v100, v39
	v_add_f16_e32 v5, v47, v49
	v_add_f16_e32 v13, v13, v3
	;; [unrolled: 1-line block ×3, first 2 shown]
	v_sub_f16_e32 v39, v42, v44
	v_fma_f16 v47, -0.5, v57, v12
	v_add_f16_e32 v12, v16, v40
	v_sub_f16_e32 v48, v16, v40
	v_fma_f16 v43, -0.5, v43, v109
	v_add_f16_e32 v49, v105, v58
	v_add_f16_e32 v54, v59, v108
	;; [unrolled: 1-line block ×4, first 2 shown]
	v_fma_f16 v34, v34, v63, -v61
	v_fma_f16 v38, v38, v65, -v67
	v_add_f16_e32 v58, v79, v80
	v_fma_f16 v17, v35, v62, -v17
	v_fma_f16 v35, v36, v64, -v19
	;; [unrolled: 1-line block ×3, first 2 shown]
	v_add_f16_e32 v59, v88, v99
	v_mul_f16_e32 v18, v71, v18
	v_mul_f16_e32 v67, v75, v77
	;; [unrolled: 1-line block ×3, first 2 shown]
	v_fmac_f16_e32 v46, 0xbaee, v110
	v_add_f16_e32 v16, v15, v16
	v_add_f16_e32 v61, v79, v14
	;; [unrolled: 1-line block ×3, first 2 shown]
	v_mul_f16_e32 v64, v74, v82
	v_mul_f16_e32 v65, v76, v90
	v_fmac_f16_e32 v81, v31, v74
	v_fmac_f16_e32 v84, v29, v76
	;; [unrolled: 1-line block ×5, first 2 shown]
	v_fmamk_f16 v71, v45, 0xbaee, v107
	v_mul_f16_e32 v72, -0.5, v111
	v_fmac_f16_e32 v107, 0x3aee, v45
	v_sub_f16_e32 v3, v5, v13
	v_add_f16_e32 v5, v5, v13
	v_fma_f16 v12, -0.5, v12, v15
	v_fmamk_f16 v75, v48, 0x3aee, v43
	v_fmac_f16_e32 v43, 0xbaee, v48
	v_fma_f16 v30, -0.5, v57, v30
	v_add_f16_e32 v13, v42, v44
	v_fma_f16 v44, -0.5, v58, v14
	v_add_f16_e32 v14, v35, v36
	v_sub_f16_e32 v42, v35, v36
	v_fma_f16 v48, -0.5, v59, v102
	v_add_f16_e32 v57, v34, v38
	v_fma_f16 v18, v27, v8, -v18
	v_fma_f16 v8, v32, v10, -v67
	;; [unrolled: 1-line block ×3, first 2 shown]
	v_sub_f16_e32 v37, v88, v99
	v_fmamk_f16 v45, v56, 0xbaee, v100
	v_fmac_f16_e32 v100, 0x3aee, v56
	v_mul_f16_e32 v56, 0x3aee, v46
	v_fmamk_f16 v74, v39, 0x3aee, v47
	v_fmac_f16_e32 v47, 0xbaee, v39
	v_sub_f16_e32 v15, v49, v54
	v_add_f16_e32 v39, v16, v40
	v_add_f16_e32 v19, v49, v54
	v_sub_f16_e32 v40, v34, v38
	v_add_f16_e32 v49, v80, v61
	v_add_f16_e32 v54, v62, v99
	;; [unrolled: 1-line block ×4, first 2 shown]
	v_fma_f16 v9, v31, v9, -v64
	v_fma_f16 v11, v29, v11, -v65
	v_add_f16_e32 v29, v81, v84
	v_add_f16_e32 v6, v89, v101
	;; [unrolled: 1-line block ×3, first 2 shown]
	v_fmac_f16_e32 v72, 0xbaee, v71
	v_mul_f16_e32 v61, 0xbaee, v107
	v_mul_f16_e32 v62, -0.5, v71
	v_fmamk_f16 v64, v41, 0xbaee, v12
	v_fmac_f16_e32 v12, 0x3aee, v41
	v_fma_f16 v70, -0.5, v14, v17
	v_fmamk_f16 v71, v42, 0x3aee, v48
	v_fmac_f16_e32 v48, 0xbaee, v42
	v_fma_f16 v42, -0.5, v57, v28
	v_add_f16_e32 v28, v8, v27
	v_sub_f16_e32 v32, v89, v101
	v_add_f16_e32 v10, v81, v91
	v_fmac_f16_e32 v56, 0.5, v107
	v_sub_f16_e32 v16, v13, v39
	v_add_f16_e32 v31, v13, v39
	v_sub_f16_e32 v33, v49, v54
	v_add_f16_e32 v13, v34, v38
	v_add_f16_e32 v14, v35, v36
	;; [unrolled: 1-line block ×3, first 2 shown]
	v_fma_f16 v49, -0.5, v29, v91
	v_sub_f16_e32 v29, v8, v27
	v_fma_f16 v54, -0.5, v6, v103
	v_add_f16_e32 v36, v58, v101
	v_add_f16_e32 v38, v9, v11
	v_fmac_f16_e32 v61, 0.5, v46
	v_mul_f16_e32 v46, 0xbaee, v12
	v_fmamk_f16 v58, v37, 0xbaee, v70
	v_fmac_f16_e32 v70, 0x3aee, v37
	v_fma_f16 v77, -0.5, v28, v18
	v_fmamk_f16 v104, v106, 0x3aee, v55
	v_fmac_f16_e32 v55, 0xbaee, v106
	v_sub_f16_e32 v63, v79, v80
	v_sub_f16_e32 v59, v81, v84
	v_mul_f16_e32 v65, -0.5, v75
	v_fmamk_f16 v41, v60, 0xbaee, v30
	v_fmac_f16_e32 v30, 0x3aee, v60
	v_mul_f16_e32 v60, 0x3aee, v43
	v_fmamk_f16 v67, v40, 0x3aee, v44
	v_fmac_f16_e32 v44, 0xbaee, v40
	v_add_f16_e32 v35, v84, v10
	v_add_f16_e32 v40, v26, v9
	;; [unrolled: 1-line block ×3, first 2 shown]
	v_fmac_f16_e32 v62, 0x3aee, v111
	v_sub_f16_e32 v8, v100, v56
	v_add_f16_e32 v10, v100, v56
	v_mul_f16_e32 v56, -0.5, v64
	v_fmamk_f16 v79, v29, 0x3aee, v54
	v_fma_f16 v81, -0.5, v38, v26
	v_fmac_f16_e32 v46, 0.5, v43
	v_mul_f16_e32 v43, 0xbaee, v70
	v_fmamk_f16 v38, v32, 0xbaee, v77
	v_fmac_f16_e32 v77, 0x3aee, v32
	v_sub_f16_e32 v17, v9, v11
	v_sub_f16_e32 v6, v104, v72
	v_add_f16_e32 v9, v104, v72
	v_fmac_f16_e32 v65, 0xbaee, v64
	v_fmac_f16_e32 v60, 0.5, v12
	v_mul_f16_e32 v64, -0.5, v71
	v_fmamk_f16 v72, v63, 0xbaee, v42
	v_fmac_f16_e32 v42, 0x3aee, v63
	v_mul_f16_e32 v37, 0x3aee, v48
	v_sub_f16_e32 v34, v13, v14
	v_add_f16_e32 v63, v13, v14
	v_fmac_f16_e32 v54, 0xbaee, v29
	v_add_f16_e32 v82, v40, v11
	v_add_f16_e32 v57, v57, v27
	v_sub_f16_e32 v12, v55, v61
	v_sub_f16_e32 v11, v45, v62
	v_add_f16_e32 v14, v55, v61
	v_add_f16_e32 v13, v45, v62
	v_fmac_f16_e32 v56, 0x3aee, v75
	v_mul_f16_e32 v45, -0.5, v58
	v_mul_f16_e32 v55, -0.5, v79
	v_sub_f16_e32 v27, v47, v46
	v_add_f16_e32 v32, v47, v46
	v_fmac_f16_e32 v43, 0.5, v48
	v_mul_f16_e32 v46, 0xbaee, v77
	v_mul_f16_e32 v47, -0.5, v38
	v_fmamk_f16 v76, v17, 0x3aee, v49
	v_fmac_f16_e32 v49, 0xbaee, v17
	v_sub_f16_e32 v18, v30, v60
	v_add_f16_e32 v29, v30, v60
	v_fmac_f16_e32 v64, 0xbaee, v58
	v_fmac_f16_e32 v37, 0.5, v70
	v_fmamk_f16 v58, v59, 0xbaee, v81
	v_sub_f16_e32 v26, v41, v56
	v_add_f16_e32 v30, v41, v56
	v_fmac_f16_e32 v45, 0x3aee, v71
	v_fmac_f16_e32 v55, 0xbaee, v38
	v_sub_f16_e32 v38, v44, v43
	v_add_f16_e32 v56, v44, v43
	v_fmac_f16_e32 v46, 0.5, v54
	v_fmac_f16_e32 v47, 0x3aee, v79
	v_fma_f16 v43, v25, v51, -v83
	s_waitcnt vmcnt(0)
	v_lshrrev_b32_e32 v25, 16, v66
	v_sub_f16_e32 v80, v35, v36
	v_add_f16_e32 v84, v35, v36
	v_sub_f16_e32 v17, v74, v65
	v_add_f16_e32 v28, v74, v65
	v_sub_f16_e32 v35, v67, v64
	v_sub_f16_e32 v36, v42, v37
	v_add_f16_e32 v40, v67, v64
	v_add_f16_e32 v42, v42, v37
	v_sub_f16_e32 v37, v72, v45
	v_add_f16_e32 v41, v72, v45
	v_sub_f16_e32 v62, v49, v46
	v_sub_f16_e32 v64, v58, v47
	v_add_f16_e32 v65, v49, v46
	v_add_f16_e32 v58, v58, v47
	v_mul_f16_e32 v45, v52, v78
	v_mul_f16_e32 v47, v66, v86
	;; [unrolled: 1-line block ×5, first 2 shown]
	v_fmac_f16_e32 v45, v23, v96
	s_waitcnt lgkmcnt(0)
	v_mul_f16_e32 v51, v50, v93
	v_fmac_f16_e32 v47, v24, v25
	v_mul_f16_e32 v25, v94, v93
	v_fma_f16 v23, v23, v52, -v48
	v_fma_f16 v24, v24, v66, -v49
	v_mul_f16_e32 v44, v97, v73
	v_fmac_f16_e32 v51, v22, v94
	v_fmac_f16_e32 v46, v21, v97
	v_fma_f16 v25, v22, v50, -v25
	v_add_f16_e32 v22, v23, v24
	v_fma_f16 v44, v21, v53, -v44
	v_add_f16_e32 v48, v45, v47
	v_add_f16_e32 v21, v98, v46
	v_sub_f16_e32 v49, v23, v24
	v_fma_f16 v50, -0.5, v22, v25
	v_sub_f16_e32 v22, v45, v47
	v_fma_f16 v48, -0.5, v48, v51
	v_fma_f16 v66, -0.5, v21, v92
	v_add_f16_e32 v45, v51, v45
	v_add_f16_e32 v51, v43, v44
	v_fmamk_f16 v21, v22, 0xbaee, v50
	v_fmac_f16_e32 v50, 0x3aee, v22
	v_mul_hi_u32 v22, 0xf2b9d649, v7
	v_fmamk_f16 v52, v49, 0x3aee, v48
	v_fmac_f16_e32 v81, 0x3aee, v59
	v_mul_f16_e32 v59, 0x3aee, v54
	v_add_f16_e32 v45, v45, v47
	v_fma_f16 v47, -0.5, v51, v20
	v_mul_f16_e32 v67, -0.5, v52
	v_mul_f16_e32 v75, -0.5, v21
	v_lshrrev_b32_e32 v22, 9, v22
	v_fmac_f16_e32 v59, 0.5, v77
	v_add_f16_e32 v20, v20, v43
	v_fmac_f16_e32 v67, 0xbaee, v21
	v_add_f16_e32 v23, v25, v23
	v_mul_u32_u24_e32 v22, 0x21c, v22
	v_sub_f16_e32 v61, v81, v59
	v_add_f16_e32 v53, v81, v59
	v_sub_f16_e32 v59, v43, v44
	v_add_f16_e32 v25, v20, v44
	v_sub_nc_u32_e32 v51, v7, v22
	v_add_f16_e32 v24, v23, v24
	v_fmac_f16_e32 v48, 0xbaee, v49
	v_fmamk_f16 v70, v59, 0x3aee, v66
	v_fmac_f16_e32 v66, 0xbaee, v59
	v_mad_u64_u32 v[21:22], null, s2, v51, 0
	v_add_f16_e32 v59, v98, v92
	v_sub_f16_e32 v77, v25, v24
	v_add_f16_e32 v25, v25, v24
	v_mul_f16_e32 v49, 0xbaee, v50
	v_sub_f16_e32 v71, v70, v67
	v_add_f16_e32 v59, v46, v59
	v_mov_b32_e32 v20, v22
	v_sub_f16_e32 v46, v98, v46
	v_fmac_f16_e32 v49, 0.5, v48
	v_mul_f16_e32 v48, 0x3aee, v48
	v_sub_f16_e32 v73, v59, v45
	v_mad_u64_u32 v[22:23], null, s3, v51, v[20:21]
	v_lshlrev_b64 v[23:24], 2, v[68:69]
	v_fmamk_f16 v74, v46, 0xbaee, v47
	v_fmac_f16_e32 v47, 0x3aee, v46
	v_add_f16_e32 v46, v59, v45
	v_add_nc_u32_e32 v45, 0x21c, v51
	v_add_nc_u32_e32 v59, 0x438, v51
	v_add_co_u32 v23, vcc_lo, s10, v23
	v_add_co_ci_u32_e32 v24, vcc_lo, s11, v24, vcc_lo
	v_mad_u64_u32 v[43:44], null, s2, v45, 0
	v_add_co_u32 v1, vcc_lo, v23, v1
	v_add_co_ci_u32_e32 v2, vcc_lo, v24, v2, vcc_lo
	v_mad_u64_u32 v[23:24], null, s2, v59, 0
	v_lshlrev_b64 v[20:21], 2, v[21:22]
	v_mov_b32_e32 v22, v44
	v_sub_f16_e32 v72, v66, v49
	v_add_f16_e32 v49, v66, v49
	v_add_nc_u32_e32 v66, 0x654, v51
	v_fmac_f16_e32 v48, 0.5, v50
	v_mad_u64_u32 v[44:45], null, s3, v45, v[22:23]
	v_mov_b32_e32 v22, v24
	v_add_f16_e32 v50, v70, v67
	v_pack_b32_f16 v67, v25, v46
	v_mad_u64_u32 v[45:46], null, s2, v66, 0
	v_add_co_u32 v20, vcc_lo, v1, v20
	v_mad_u64_u32 v[24:25], null, s3, v59, v[22:23]
	v_sub_f16_e32 v54, v76, v55
	v_add_f16_e32 v55, v76, v55
	v_sub_f16_e32 v76, v47, v48
	v_add_co_ci_u32_e32 v21, vcc_lo, v2, v21, vcc_lo
	v_add_f16_e32 v25, v47, v48
	v_add_nc_u32_e32 v47, 0x6c, v7
	v_fmac_f16_e32 v75, 0x3aee, v52
	global_store_dword v[20:21], v67, off
	v_mov_b32_e32 v20, v46
	v_lshlrev_b64 v[21:22], 2, v[43:44]
	v_mul_hi_u32 v46, 0xf2b9d649, v47
	v_add_f16_e32 v59, v74, v75
	v_sub_f16_e32 v52, v74, v75
	v_sub_f16_e32 v60, v82, v57
	v_add_f16_e32 v57, v82, v57
	v_mad_u64_u32 v[43:44], null, s3, v66, v[20:21]
	v_pack_b32_f16 v66, v25, v49
	v_lshrrev_b32_e32 v48, 9, v46
	v_add_nc_u32_e32 v49, 0x870, v51
	v_add_co_u32 v20, vcc_lo, v1, v21
	v_add_nc_u32_e32 v51, 0xa8c, v51
	v_mul_u32_u24_e32 v67, 0x21c, v48
	v_add_co_ci_u32_e32 v21, vcc_lo, v2, v22, vcc_lo
	v_lshlrev_b64 v[22:23], 2, v[23:24]
	v_mad_u64_u32 v[24:25], null, s2, v49, 0
	v_mov_b32_e32 v46, v43
	v_mad_u64_u32 v[43:44], null, s2, v51, 0
	v_sub_nc_u32_e32 v47, v47, v67
	v_add_co_u32 v22, vcc_lo, v1, v22
	v_lshlrev_b64 v[45:46], 2, v[45:46]
	v_pack_b32_f16 v59, v59, v50
	v_mad_u32_u24 v67, 0xca8, v48, v47
	v_mad_u64_u32 v[47:48], null, s3, v49, v[25:26]
	v_mov_b32_e32 v25, v44
	v_add_co_ci_u32_e32 v23, vcc_lo, v2, v23, vcc_lo
	v_mad_u64_u32 v[48:49], null, s2, v67, 0
	v_mad_u64_u32 v[50:51], null, s3, v51, v[25:26]
	v_mov_b32_e32 v25, v47
	v_add_co_u32 v44, vcc_lo, v1, v45
	global_store_dword v[20:21], v66, off
	global_store_dword v[22:23], v59, off
	v_add_co_ci_u32_e32 v45, vcc_lo, v2, v46, vcc_lo
	v_lshlrev_b64 v[21:22], 2, v[24:25]
	v_pack_b32_f16 v46, v77, v73
	v_mov_b32_e32 v20, v49
	v_add_nc_u32_e32 v47, 0x21c, v67
	v_add_nc_u32_e32 v66, 0x654, v67
	v_pack_b32_f16 v59, v76, v72
	global_store_dword v[44:45], v46, off
	v_mov_b32_e32 v44, v50
	v_mad_u64_u32 v[23:24], null, s3, v67, v[20:21]
	v_add_co_u32 v20, vcc_lo, v1, v21
	v_lshlrev_b64 v[24:25], 2, v[43:44]
	v_add_nc_u32_e32 v50, 0x438, v67
	v_add_co_ci_u32_e32 v21, vcc_lo, v2, v22, vcc_lo
	v_mov_b32_e32 v49, v23
	v_mad_u64_u32 v[22:23], null, s2, v47, 0
	v_add_co_u32 v24, vcc_lo, v1, v24
	v_mad_u64_u32 v[45:46], null, s2, v50, 0
	v_lshlrev_b64 v[43:44], 2, v[48:49]
	v_add_co_ci_u32_e32 v25, vcc_lo, v2, v25, vcc_lo
	v_mad_u64_u32 v[47:48], null, s3, v47, v[23:24]
	v_mad_u64_u32 v[48:49], null, s2, v66, 0
	v_mov_b32_e32 v23, v46
	v_pack_b32_f16 v52, v52, v71
	v_add_co_u32 v43, vcc_lo, v1, v43
	global_store_dword v[20:21], v59, off
	v_mad_u64_u32 v[50:51], null, s3, v50, v[23:24]
	v_mov_b32_e32 v23, v47
	v_add_nc_u32_e32 v47, 0xd8, v7
	global_store_dword v[24:25], v52, off
	v_add_co_ci_u32_e32 v44, vcc_lo, v2, v44, vcc_lo
	v_lshlrev_b64 v[21:22], 2, v[22:23]
	v_mul_hi_u32 v25, 0xf2b9d649, v47
	v_pack_b32_f16 v46, v57, v84
	v_mov_b32_e32 v20, v49
	v_add_nc_u32_e32 v51, 0x870, v67
	v_pack_b32_f16 v52, v53, v65
	v_add_nc_u32_e32 v53, 0xa8c, v67
	global_store_dword v[43:44], v46, off
	v_mov_b32_e32 v46, v50
	v_mad_u64_u32 v[23:24], null, s3, v66, v[20:21]
	v_lshrrev_b32_e32 v50, 9, v25
	v_add_co_u32 v20, vcc_lo, v1, v21
	v_lshlrev_b64 v[24:25], 2, v[45:46]
	v_add_co_ci_u32_e32 v21, vcc_lo, v2, v22, vcc_lo
	v_mul_u32_u24_e32 v45, 0x21c, v50
	v_mov_b32_e32 v49, v23
	v_mad_u64_u32 v[22:23], null, s2, v51, 0
	v_mad_u64_u32 v[43:44], null, s2, v53, 0
	v_sub_nc_u32_e32 v47, v47, v45
	v_add_co_u32 v24, vcc_lo, v1, v24
	v_lshlrev_b64 v[45:46], 2, v[48:49]
	v_add_co_ci_u32_e32 v25, vcc_lo, v2, v25, vcc_lo
	v_mad_u32_u24 v57, 0xca8, v50, v47
	v_mad_u64_u32 v[47:48], null, s3, v51, v[23:24]
	v_mov_b32_e32 v23, v44
	v_pack_b32_f16 v55, v58, v55
	v_mad_u64_u32 v[48:49], null, s2, v57, 0
	v_add_co_u32 v44, vcc_lo, v1, v45
	v_mad_u64_u32 v[50:51], null, s3, v53, v[23:24]
	v_mov_b32_e32 v23, v47
	global_store_dword v[20:21], v52, off
	global_store_dword v[24:25], v55, off
	v_mov_b32_e32 v20, v49
	v_add_co_ci_u32_e32 v45, vcc_lo, v2, v46, vcc_lo
	v_lshlrev_b64 v[21:22], 2, v[22:23]
	v_pack_b32_f16 v46, v60, v80
	v_add_nc_u32_e32 v47, 0x21c, v57
	v_pack_b32_f16 v53, v64, v54
	v_add_nc_u32_e32 v54, 0x654, v57
	v_pack_b32_f16 v52, v61, v62
	v_mad_u64_u32 v[23:24], null, s3, v57, v[20:21]
	global_store_dword v[44:45], v46, off
	v_mov_b32_e32 v44, v50
	v_add_nc_u32_e32 v50, 0x438, v57
	v_add_co_u32 v20, vcc_lo, v1, v21
	v_add_co_ci_u32_e32 v21, vcc_lo, v2, v22, vcc_lo
	v_lshlrev_b64 v[24:25], 2, v[43:44]
	v_mov_b32_e32 v49, v23
	v_mad_u64_u32 v[22:23], null, s2, v47, 0
	v_mad_u64_u32 v[45:46], null, s2, v50, 0
	v_add_co_u32 v24, vcc_lo, v1, v24
	v_lshlrev_b64 v[43:44], 2, v[48:49]
	v_add_co_ci_u32_e32 v25, vcc_lo, v2, v25, vcc_lo
	v_mad_u64_u32 v[47:48], null, s3, v47, v[23:24]
	v_mov_b32_e32 v23, v46
	v_add_co_u32 v43, vcc_lo, v1, v43
	v_add_co_ci_u32_e32 v44, vcc_lo, v2, v44, vcc_lo
	v_pack_b32_f16 v39, v63, v39
	v_mad_u64_u32 v[48:49], null, s2, v54, 0
	v_mad_u64_u32 v[50:51], null, s3, v50, v[23:24]
	global_store_dword v[20:21], v52, off
	v_mov_b32_e32 v23, v47
	global_store_dword v[24:25], v53, off
	global_store_dword v[43:44], v39, off
	v_add_nc_u32_e32 v39, 0x144, v7
	v_mov_b32_e32 v20, v49
	v_add_nc_u32_e32 v44, 0x870, v57
	v_lshlrev_b64 v[21:22], 2, v[22:23]
	v_mov_b32_e32 v46, v50
	v_mul_hi_u32 v43, 0xf2b9d649, v39
	v_pack_b32_f16 v47, v42, v56
	v_pack_b32_f16 v51, v41, v40
	;; [unrolled: 1-line block ×3, first 2 shown]
	v_mad_u64_u32 v[23:24], null, s3, v54, v[20:21]
	v_lshlrev_b64 v[24:25], 2, v[45:46]
	v_add_nc_u32_e32 v45, 0xa8c, v57
	v_lshrrev_b32_e32 v46, 9, v43
	v_add_co_u32 v20, vcc_lo, v1, v21
	v_add_co_ci_u32_e32 v21, vcc_lo, v2, v22, vcc_lo
	v_mad_u64_u32 v[42:43], null, s2, v45, 0
	v_mul_u32_u24_e32 v50, 0x21c, v46
	v_mov_b32_e32 v49, v23
	v_mad_u64_u32 v[22:23], null, s2, v44, 0
	v_add_co_u32 v24, vcc_lo, v1, v24
	v_sub_nc_u32_e32 v50, v39, v50
	v_mov_b32_e32 v41, v43
	v_lshlrev_b64 v[39:40], 2, v[48:49]
	v_add_co_ci_u32_e32 v25, vcc_lo, v2, v25, vcc_lo
	v_mad_u64_u32 v[43:44], null, s3, v44, v[23:24]
	v_mad_u32_u24 v48, 0xca8, v46, v50
	v_mad_u64_u32 v[44:45], null, s3, v45, v[41:42]
	v_add_co_u32 v39, vcc_lo, v1, v39
	v_mad_u64_u32 v[45:46], null, s2, v48, 0
	v_mov_b32_e32 v23, v43
	v_add_co_ci_u32_e32 v40, vcc_lo, v2, v40, vcc_lo
	global_store_dword v[20:21], v47, off
	global_store_dword v[24:25], v51, off
	v_mov_b32_e32 v43, v44
	v_add_nc_u32_e32 v25, 0x21c, v48
	v_lshlrev_b64 v[21:22], 2, v[22:23]
	v_mov_b32_e32 v20, v46
	global_store_dword v[39:40], v33, off
	v_lshlrev_b64 v[23:24], 2, v[42:43]
	v_mad_u64_u32 v[39:40], null, s2, v25, 0
	v_mad_u64_u32 v[33:34], null, s3, v48, v[20:21]
	v_add_co_u32 v20, vcc_lo, v1, v21
	v_add_co_ci_u32_e32 v21, vcc_lo, v2, v22, vcc_lo
	v_add_co_u32 v22, vcc_lo, v1, v23
	v_add_co_ci_u32_e32 v23, vcc_lo, v2, v24, vcc_lo
	v_mov_b32_e32 v24, v40
	v_add_nc_u32_e32 v41, 0x438, v48
	v_mov_b32_e32 v46, v33
	v_pack_b32_f16 v38, v36, v38
	v_pack_b32_f16 v37, v37, v35
	v_mad_u64_u32 v[24:25], null, s3, v25, v[24:25]
	v_mad_u64_u32 v[35:36], null, s2, v41, 0
	v_lshlrev_b64 v[33:34], 2, v[45:46]
	global_store_dword v[20:21], v38, off
	v_pack_b32_f16 v25, v31, v19
	v_add_nc_u32_e32 v31, 0x654, v48
	v_mov_b32_e32 v40, v24
	global_store_dword v[22:23], v37, off
	v_mov_b32_e32 v19, v36
	v_add_co_u32 v33, vcc_lo, v1, v33
	v_lshlrev_b64 v[20:21], 2, v[39:40]
	v_add_co_ci_u32_e32 v34, vcc_lo, v2, v34, vcc_lo
	v_add_nc_u32_e32 v37, 0x1b0, v7
	v_pack_b32_f16 v38, v29, v32
	v_add_nc_u32_e32 v29, 0xa8c, v48
	v_mad_u64_u32 v[22:23], null, s3, v41, v[19:20]
	v_mad_u64_u32 v[23:24], null, s2, v31, 0
	global_store_dword v[33:34], v25, off
	v_add_nc_u32_e32 v34, 0x870, v48
	v_add_co_u32 v19, vcc_lo, v1, v20
	v_mul_hi_u32 v33, 0xf2b9d649, v37
	v_add_co_ci_u32_e32 v20, vcc_lo, v2, v21, vcc_lo
	v_mov_b32_e32 v36, v22
	v_mad_u64_u32 v[21:22], null, s2, v34, 0
	v_mov_b32_e32 v7, v24
	global_store_dword v[19:20], v38, off
	v_lshrrev_b32_e32 v39, 9, v33
	v_lshlrev_b64 v[24:25], 2, v[35:36]
	v_pack_b32_f16 v17, v26, v17
	v_mad_u64_u32 v[31:32], null, s3, v31, v[7:8]
	v_mad_u64_u32 v[32:33], null, s2, v29, 0
	v_mov_b32_e32 v7, v22
	v_mul_u32_u24_e32 v22, 0x21c, v39
	v_pack_b32_f16 v3, v3, v0
	v_mad_u64_u32 v[34:35], null, s3, v34, v[7:8]
	v_add_co_u32 v35, vcc_lo, v1, v24
	v_mov_b32_e32 v7, v33
	v_add_co_ci_u32_e32 v36, vcc_lo, v2, v25, vcc_lo
	v_pack_b32_f16 v25, v30, v28
	v_sub_nc_u32_e32 v30, v37, v22
	v_mad_u64_u32 v[28:29], null, s3, v29, v[7:8]
	v_mov_b32_e32 v24, v31
	v_mov_b32_e32 v22, v34
	v_mad_u32_u24 v29, 0xca8, v39, v30
	global_store_dword v[35:36], v25, off
	v_lshlrev_b64 v[19:20], 2, v[23:24]
	v_mov_b32_e32 v33, v28
	v_mad_u64_u32 v[23:24], null, s2, v29, 0
	v_lshlrev_b64 v[21:22], 2, v[21:22]
	v_pack_b32_f16 v28, v16, v15
	v_add_co_u32 v19, vcc_lo, v1, v19
	v_lshlrev_b64 v[15:16], 2, v[32:33]
	v_add_co_ci_u32_e32 v20, vcc_lo, v2, v20, vcc_lo
	v_mov_b32_e32 v7, v24
	v_add_co_u32 v21, vcc_lo, v1, v21
	v_add_co_ci_u32_e32 v22, vcc_lo, v2, v22, vcc_lo
	v_add_co_u32 v15, vcc_lo, v1, v15
	v_mad_u64_u32 v[24:25], null, s3, v29, v[7:8]
	v_add_co_ci_u32_e32 v16, vcc_lo, v2, v16, vcc_lo
	v_add_nc_u32_e32 v25, 0x21c, v29
	v_pack_b32_f16 v7, v18, v27
	global_store_dword v[19:20], v28, off
	global_store_dword v[21:22], v7, off
	;; [unrolled: 1-line block ×3, first 2 shown]
	v_mad_u64_u32 v[17:18], null, s2, v25, 0
	v_add_nc_u32_e32 v26, 0x438, v29
	v_lshlrev_b64 v[15:16], 2, v[23:24]
	v_add_nc_u32_e32 v27, 0x654, v29
	v_add_nc_u32_e32 v28, 0x870, v29
	v_mad_u64_u32 v[19:20], null, s2, v26, 0
	v_mov_b32_e32 v7, v18
	v_add_co_u32 v15, vcc_lo, v1, v15
	v_add_co_ci_u32_e32 v16, vcc_lo, v2, v16, vcc_lo
	v_mad_u64_u32 v[23:24], null, s3, v25, v[7:8]
	v_mov_b32_e32 v18, v20
	v_pack_b32_f16 v7, v5, v4
	v_mad_u64_u32 v[21:22], null, s2, v27, 0
	v_mad_u64_u32 v[24:25], null, s2, v28, 0
	;; [unrolled: 1-line block ×3, first 2 shown]
	v_mov_b32_e32 v18, v23
	global_store_dword v[15:16], v7, off
	v_add_nc_u32_e32 v7, 0xa8c, v29
	v_mov_b32_e32 v5, v22
	v_pack_b32_f16 v26, v10, v14
	v_lshlrev_b64 v[15:16], 2, v[17:18]
	v_mov_b32_e32 v20, v4
	v_mad_u64_u32 v[17:18], null, s2, v7, 0
	v_mov_b32_e32 v4, v25
	v_mad_u64_u32 v[22:23], null, s3, v27, v[5:6]
	v_add_co_u32 v15, vcc_lo, v1, v15
	v_mad_u64_u32 v[4:5], null, s3, v28, v[4:5]
	v_mov_b32_e32 v5, v18
	v_lshlrev_b64 v[18:19], 2, v[19:20]
	v_lshlrev_b64 v[20:21], 2, v[21:22]
	v_add_co_ci_u32_e32 v16, vcc_lo, v2, v16, vcc_lo
	v_mad_u64_u32 v[22:23], null, s3, v7, v[5:6]
	v_mov_b32_e32 v25, v4
	v_add_co_u32 v4, vcc_lo, v1, v18
	v_pack_b32_f16 v7, v13, v9
	v_add_co_ci_u32_e32 v5, vcc_lo, v2, v19, vcc_lo
	v_mov_b32_e32 v18, v22
	v_lshlrev_b64 v[9:10], 2, v[24:25]
	v_add_co_u32 v13, vcc_lo, v1, v20
	v_add_co_ci_u32_e32 v14, vcc_lo, v2, v21, vcc_lo
	v_lshlrev_b64 v[17:18], 2, v[17:18]
	v_add_co_u32 v9, vcc_lo, v1, v9
	v_add_co_ci_u32_e32 v10, vcc_lo, v2, v10, vcc_lo
	v_pack_b32_f16 v8, v8, v12
	v_add_co_u32 v0, vcc_lo, v1, v17
	v_add_co_ci_u32_e32 v1, vcc_lo, v2, v18, vcc_lo
	v_pack_b32_f16 v2, v11, v6
	global_store_dword v[15:16], v26, off
	global_store_dword v[4:5], v7, off
	;; [unrolled: 1-line block ×5, first 2 shown]
.LBB0_15:
	s_endpgm
	.section	.rodata,"a",@progbits
	.p2align	6, 0x0
	.amdhsa_kernel fft_rtc_fwd_len3240_factors_3_3_10_6_6_wgs_108_tpt_108_halfLds_half_op_CI_CI_sbrr_dirReg
		.amdhsa_group_segment_fixed_size 0
		.amdhsa_private_segment_fixed_size 0
		.amdhsa_kernarg_size 104
		.amdhsa_user_sgpr_count 6
		.amdhsa_user_sgpr_private_segment_buffer 1
		.amdhsa_user_sgpr_dispatch_ptr 0
		.amdhsa_user_sgpr_queue_ptr 0
		.amdhsa_user_sgpr_kernarg_segment_ptr 1
		.amdhsa_user_sgpr_dispatch_id 0
		.amdhsa_user_sgpr_flat_scratch_init 0
		.amdhsa_user_sgpr_private_segment_size 0
		.amdhsa_wavefront_size32 1
		.amdhsa_uses_dynamic_stack 0
		.amdhsa_system_sgpr_private_segment_wavefront_offset 0
		.amdhsa_system_sgpr_workgroup_id_x 1
		.amdhsa_system_sgpr_workgroup_id_y 0
		.amdhsa_system_sgpr_workgroup_id_z 0
		.amdhsa_system_sgpr_workgroup_info 0
		.amdhsa_system_vgpr_workitem_id 0
		.amdhsa_next_free_vgpr 128
		.amdhsa_next_free_sgpr 31
		.amdhsa_reserve_vcc 1
		.amdhsa_reserve_flat_scratch 0
		.amdhsa_float_round_mode_32 0
		.amdhsa_float_round_mode_16_64 0
		.amdhsa_float_denorm_mode_32 3
		.amdhsa_float_denorm_mode_16_64 3
		.amdhsa_dx10_clamp 1
		.amdhsa_ieee_mode 1
		.amdhsa_fp16_overflow 0
		.amdhsa_workgroup_processor_mode 1
		.amdhsa_memory_ordered 1
		.amdhsa_forward_progress 0
		.amdhsa_shared_vgpr_count 0
		.amdhsa_exception_fp_ieee_invalid_op 0
		.amdhsa_exception_fp_denorm_src 0
		.amdhsa_exception_fp_ieee_div_zero 0
		.amdhsa_exception_fp_ieee_overflow 0
		.amdhsa_exception_fp_ieee_underflow 0
		.amdhsa_exception_fp_ieee_inexact 0
		.amdhsa_exception_int_div_zero 0
	.end_amdhsa_kernel
	.text
.Lfunc_end0:
	.size	fft_rtc_fwd_len3240_factors_3_3_10_6_6_wgs_108_tpt_108_halfLds_half_op_CI_CI_sbrr_dirReg, .Lfunc_end0-fft_rtc_fwd_len3240_factors_3_3_10_6_6_wgs_108_tpt_108_halfLds_half_op_CI_CI_sbrr_dirReg
                                        ; -- End function
	.section	.AMDGPU.csdata,"",@progbits
; Kernel info:
; codeLenInByte = 21272
; NumSgprs: 33
; NumVgprs: 128
; ScratchSize: 0
; MemoryBound: 0
; FloatMode: 240
; IeeeMode: 1
; LDSByteSize: 0 bytes/workgroup (compile time only)
; SGPRBlocks: 4
; VGPRBlocks: 15
; NumSGPRsForWavesPerEU: 33
; NumVGPRsForWavesPerEU: 128
; Occupancy: 8
; WaveLimiterHint : 1
; COMPUTE_PGM_RSRC2:SCRATCH_EN: 0
; COMPUTE_PGM_RSRC2:USER_SGPR: 6
; COMPUTE_PGM_RSRC2:TRAP_HANDLER: 0
; COMPUTE_PGM_RSRC2:TGID_X_EN: 1
; COMPUTE_PGM_RSRC2:TGID_Y_EN: 0
; COMPUTE_PGM_RSRC2:TGID_Z_EN: 0
; COMPUTE_PGM_RSRC2:TIDIG_COMP_CNT: 0
	.text
	.p2alignl 6, 3214868480
	.fill 48, 4, 3214868480
	.type	__hip_cuid_db75538e58d146e7,@object ; @__hip_cuid_db75538e58d146e7
	.section	.bss,"aw",@nobits
	.globl	__hip_cuid_db75538e58d146e7
__hip_cuid_db75538e58d146e7:
	.byte	0                               ; 0x0
	.size	__hip_cuid_db75538e58d146e7, 1

	.ident	"AMD clang version 19.0.0git (https://github.com/RadeonOpenCompute/llvm-project roc-6.4.0 25133 c7fe45cf4b819c5991fe208aaa96edf142730f1d)"
	.section	".note.GNU-stack","",@progbits
	.addrsig
	.addrsig_sym __hip_cuid_db75538e58d146e7
	.amdgpu_metadata
---
amdhsa.kernels:
  - .args:
      - .actual_access:  read_only
        .address_space:  global
        .offset:         0
        .size:           8
        .value_kind:     global_buffer
      - .offset:         8
        .size:           8
        .value_kind:     by_value
      - .actual_access:  read_only
        .address_space:  global
        .offset:         16
        .size:           8
        .value_kind:     global_buffer
      - .actual_access:  read_only
        .address_space:  global
        .offset:         24
        .size:           8
        .value_kind:     global_buffer
      - .actual_access:  read_only
        .address_space:  global
        .offset:         32
        .size:           8
        .value_kind:     global_buffer
      - .offset:         40
        .size:           8
        .value_kind:     by_value
      - .actual_access:  read_only
        .address_space:  global
        .offset:         48
        .size:           8
        .value_kind:     global_buffer
      - .actual_access:  read_only
        .address_space:  global
        .offset:         56
        .size:           8
        .value_kind:     global_buffer
      - .offset:         64
        .size:           4
        .value_kind:     by_value
      - .actual_access:  read_only
        .address_space:  global
        .offset:         72
        .size:           8
        .value_kind:     global_buffer
      - .actual_access:  read_only
        .address_space:  global
        .offset:         80
        .size:           8
        .value_kind:     global_buffer
      - .actual_access:  read_only
        .address_space:  global
        .offset:         88
        .size:           8
        .value_kind:     global_buffer
      - .actual_access:  write_only
        .address_space:  global
        .offset:         96
        .size:           8
        .value_kind:     global_buffer
    .group_segment_fixed_size: 0
    .kernarg_segment_align: 8
    .kernarg_segment_size: 104
    .language:       OpenCL C
    .language_version:
      - 2
      - 0
    .max_flat_workgroup_size: 108
    .name:           fft_rtc_fwd_len3240_factors_3_3_10_6_6_wgs_108_tpt_108_halfLds_half_op_CI_CI_sbrr_dirReg
    .private_segment_fixed_size: 0
    .sgpr_count:     33
    .sgpr_spill_count: 0
    .symbol:         fft_rtc_fwd_len3240_factors_3_3_10_6_6_wgs_108_tpt_108_halfLds_half_op_CI_CI_sbrr_dirReg.kd
    .uniform_work_group_size: 1
    .uses_dynamic_stack: false
    .vgpr_count:     128
    .vgpr_spill_count: 0
    .wavefront_size: 32
    .workgroup_processor_mode: 1
amdhsa.target:   amdgcn-amd-amdhsa--gfx1030
amdhsa.version:
  - 1
  - 2
...

	.end_amdgpu_metadata
